;; amdgpu-corpus repo=ROCm/rocFFT kind=compiled arch=gfx1030 opt=O3
	.text
	.amdgcn_target "amdgcn-amd-amdhsa--gfx1030"
	.amdhsa_code_object_version 6
	.protected	fft_rtc_back_len208_factors_13_16_wgs_144_tpt_16_sp_ip_CI_sbcc_twdbase8_3step_dirReg ; -- Begin function fft_rtc_back_len208_factors_13_16_wgs_144_tpt_16_sp_ip_CI_sbcc_twdbase8_3step_dirReg
	.globl	fft_rtc_back_len208_factors_13_16_wgs_144_tpt_16_sp_ip_CI_sbcc_twdbase8_3step_dirReg
	.p2align	8
	.type	fft_rtc_back_len208_factors_13_16_wgs_144_tpt_16_sp_ip_CI_sbcc_twdbase8_3step_dirReg,@function
fft_rtc_back_len208_factors_13_16_wgs_144_tpt_16_sp_ip_CI_sbcc_twdbase8_3step_dirReg: ; @fft_rtc_back_len208_factors_13_16_wgs_144_tpt_16_sp_ip_CI_sbcc_twdbase8_3step_dirReg
; %bb.0:
	s_load_dwordx4 s[0:3], s[4:5], 0x18
	s_mov_b64 s[22:23], 0
	s_waitcnt lgkmcnt(0)
	s_load_dwordx2 s[18:19], s[0:1], 0x8
	s_waitcnt lgkmcnt(0)
	s_add_u32 s7, s18, -1
	s_addc_u32 s8, s19, -1
	s_add_u32 s9, 0, 0x71c4fc00
	s_addc_u32 s10, 0, 0x7c
	s_mul_hi_u32 s12, s9, -9
	s_add_i32 s10, s10, 0x1c71c6a0
	s_sub_i32 s12, s12, s9
	s_mul_i32 s14, s10, -9
	s_mul_i32 s11, s9, -9
	s_add_i32 s12, s12, s14
	s_mul_hi_u32 s13, s9, s11
	s_mul_i32 s16, s9, s12
	s_mul_hi_u32 s14, s9, s12
	s_mul_hi_u32 s15, s10, s11
	s_mul_i32 s11, s10, s11
	s_add_u32 s13, s13, s16
	s_addc_u32 s14, 0, s14
	s_mul_hi_u32 s17, s10, s12
	s_add_u32 s11, s13, s11
	s_mul_i32 s12, s10, s12
	s_addc_u32 s11, s14, s15
	s_addc_u32 s13, s17, 0
	s_add_u32 s11, s11, s12
	v_add_co_u32 v1, s9, s9, s11
	s_addc_u32 s11, 0, s13
	s_cmp_lg_u32 s9, 0
	s_addc_u32 s9, s10, s11
	v_readfirstlane_b32 s10, v1
	s_mul_i32 s12, s7, s9
	s_mul_hi_u32 s11, s7, s9
	s_mul_hi_u32 s13, s8, s9
	s_mul_i32 s9, s8, s9
	s_mul_hi_u32 s14, s7, s10
	s_mul_hi_u32 s15, s8, s10
	s_mul_i32 s10, s8, s10
	s_add_u32 s12, s14, s12
	s_addc_u32 s11, 0, s11
	s_add_u32 s10, s12, s10
	s_addc_u32 s10, s11, s15
	s_addc_u32 s11, s13, 0
	s_add_u32 s9, s10, s9
	s_addc_u32 s10, 0, s11
	s_mul_i32 s12, s9, 9
	s_add_u32 s11, s9, 1
	v_sub_co_u32 v1, s7, s7, s12
	s_mul_hi_u32 s12, s9, 9
	s_addc_u32 s13, s10, 0
	s_mul_i32 s14, s10, 9
	v_sub_co_u32 v2, s15, v1, 9
	s_add_u32 s16, s9, 2
	s_addc_u32 s17, s10, 0
	s_add_i32 s12, s12, s14
	s_cmp_lg_u32 s7, 0
	v_readfirstlane_b32 s7, v2
	s_subb_u32 s8, s8, s12
	s_cmp_lg_u32 s15, 0
	s_subb_u32 s12, s8, 0
	s_cmp_gt_u32 s7, 8
	s_cselect_b32 s7, -1, 0
	s_cmp_eq_u32 s12, 0
	v_readfirstlane_b32 s12, v1
	s_cselect_b32 s7, s7, -1
	s_cmp_lg_u32 s7, 0
	s_cselect_b32 s11, s16, s11
	s_cselect_b32 s13, s17, s13
	s_cmp_gt_u32 s12, 8
	s_cselect_b32 s7, -1, 0
	s_cmp_eq_u32 s8, 0
	s_cselect_b32 s7, s7, -1
	s_cmp_lg_u32 s7, 0
	s_mov_b32 s7, 0
	s_cselect_b32 s8, s11, s9
	s_cselect_b32 s9, s13, s10
	s_add_u32 s20, s8, 1
	s_addc_u32 s21, s9, 0
	v_cmp_lt_u64_e64 s8, s[6:7], s[20:21]
	s_and_b32 vcc_lo, exec_lo, s8
	s_cbranch_vccnz .LBB0_2
; %bb.1:
	v_cvt_f32_u32_e32 v1, s20
	s_sub_i32 s9, 0, s20
	s_mov_b32 s23, s7
	v_rcp_iflag_f32_e32 v1, v1
	v_mul_f32_e32 v1, 0x4f7ffffe, v1
	v_cvt_u32_f32_e32 v1, v1
	v_readfirstlane_b32 s8, v1
	s_mul_i32 s9, s9, s8
	s_mul_hi_u32 s9, s8, s9
	s_add_i32 s8, s8, s9
	s_mul_hi_u32 s8, s6, s8
	s_mul_i32 s9, s8, s20
	s_add_i32 s10, s8, 1
	s_sub_i32 s9, s6, s9
	s_sub_i32 s11, s9, s20
	s_cmp_ge_u32 s9, s20
	s_cselect_b32 s8, s10, s8
	s_cselect_b32 s9, s11, s9
	s_add_i32 s10, s8, 1
	s_cmp_ge_u32 s9, s20
	s_cselect_b32 s22, s10, s8
.LBB0_2:
	s_load_dwordx4 s[8:11], s[2:3], 0x0
	s_clause 0x2
	s_load_dwordx4 s[12:15], s[4:5], 0x8
	s_load_dwordx2 s[16:17], s[4:5], 0x0
	s_load_dwordx2 s[4:5], s[4:5], 0x58
	s_mul_i32 s24, s22, s21
	s_mul_hi_u32 s25, s22, s20
	s_mul_i32 s26, s22, s20
	s_add_i32 s25, s25, s24
	s_sub_u32 s36, s6, s26
	s_subb_u32 s24, 0, s25
	s_mul_hi_u32 s33, s36, 9
	s_mul_i32 s24, s24, 9
	s_mul_i32 s36, s36, 9
	s_add_i32 s33, s33, s24
	s_waitcnt lgkmcnt(0)
	s_mul_i32 s24, s10, s33
	v_cmp_lt_u64_e64 s26, s[14:15], 3
	s_mul_hi_u32 s25, s10, s36
	s_mul_i32 s38, s10, s36
	s_add_i32 s24, s25, s24
	s_mul_i32 s25, s11, s36
	s_add_i32 s37, s24, s25
	s_and_b32 vcc_lo, exec_lo, s26
	s_cbranch_vccnz .LBB0_12
; %bb.3:
	s_add_u32 s24, s2, 16
	s_addc_u32 s25, s3, 0
	s_add_u32 s0, s0, 16
	s_addc_u32 s1, s1, 0
	s_mov_b64 s[26:27], 2
	s_mov_b32 s28, 0
.LBB0_4:                                ; =>This Inner Loop Header: Depth=1
	s_load_dwordx2 s[30:31], s[0:1], 0x0
	s_waitcnt lgkmcnt(0)
	s_or_b64 s[34:35], s[22:23], s[30:31]
	s_mov_b32 s29, s35
                                        ; implicit-def: $sgpr34_sgpr35
	s_cmp_lg_u64 s[28:29], 0
	s_mov_b32 s29, -1
	s_cbranch_scc0 .LBB0_6
; %bb.5:                                ;   in Loop: Header=BB0_4 Depth=1
	v_cvt_f32_u32_e32 v1, s30
	v_cvt_f32_u32_e32 v2, s31
	s_sub_u32 s35, 0, s30
	s_subb_u32 s39, 0, s31
	v_fmac_f32_e32 v1, 0x4f800000, v2
	v_rcp_f32_e32 v1, v1
	v_mul_f32_e32 v1, 0x5f7ffffc, v1
	v_mul_f32_e32 v2, 0x2f800000, v1
	v_trunc_f32_e32 v2, v2
	v_fmac_f32_e32 v1, 0xcf800000, v2
	v_cvt_u32_f32_e32 v2, v2
	v_cvt_u32_f32_e32 v1, v1
	v_readfirstlane_b32 s29, v2
	v_readfirstlane_b32 s34, v1
	s_mul_i32 s40, s35, s29
	s_mul_hi_u32 s42, s35, s34
	s_mul_i32 s41, s39, s34
	s_add_i32 s40, s42, s40
	s_mul_i32 s43, s35, s34
	s_add_i32 s40, s40, s41
	s_mul_hi_u32 s42, s34, s43
	s_mul_hi_u32 s44, s29, s43
	s_mul_i32 s41, s29, s43
	s_mul_hi_u32 s43, s34, s40
	s_mul_i32 s34, s34, s40
	s_mul_hi_u32 s45, s29, s40
	s_add_u32 s34, s42, s34
	s_addc_u32 s42, 0, s43
	s_add_u32 s34, s34, s41
	s_mul_i32 s40, s29, s40
	s_addc_u32 s34, s42, s44
	s_addc_u32 s41, s45, 0
	s_add_u32 s34, s34, s40
	s_addc_u32 s40, 0, s41
	v_add_co_u32 v1, s34, v1, s34
	s_cmp_lg_u32 s34, 0
	s_addc_u32 s29, s29, s40
	v_readfirstlane_b32 s34, v1
	s_mul_i32 s40, s35, s29
	s_mul_hi_u32 s41, s35, s34
	s_mul_i32 s39, s39, s34
	s_add_i32 s40, s41, s40
	s_mul_i32 s35, s35, s34
	s_add_i32 s40, s40, s39
	s_mul_hi_u32 s41, s29, s35
	s_mul_i32 s42, s29, s35
	s_mul_hi_u32 s35, s34, s35
	s_mul_hi_u32 s43, s34, s40
	s_mul_i32 s34, s34, s40
	s_mul_hi_u32 s39, s29, s40
	s_add_u32 s34, s35, s34
	s_addc_u32 s35, 0, s43
	s_add_u32 s34, s34, s42
	s_mul_i32 s40, s29, s40
	s_addc_u32 s34, s35, s41
	s_addc_u32 s35, s39, 0
	s_add_u32 s34, s34, s40
	s_addc_u32 s35, 0, s35
	v_add_co_u32 v1, s34, v1, s34
	s_cmp_lg_u32 s34, 0
	s_addc_u32 s29, s29, s35
	v_readfirstlane_b32 s34, v1
	s_mul_i32 s39, s22, s29
	s_mul_hi_u32 s35, s22, s29
	s_mul_hi_u32 s40, s23, s29
	s_mul_i32 s29, s23, s29
	s_mul_hi_u32 s41, s22, s34
	s_mul_hi_u32 s42, s23, s34
	s_mul_i32 s34, s23, s34
	s_add_u32 s39, s41, s39
	s_addc_u32 s35, 0, s35
	s_add_u32 s34, s39, s34
	s_addc_u32 s34, s35, s42
	s_addc_u32 s35, s40, 0
	s_add_u32 s34, s34, s29
	s_addc_u32 s35, 0, s35
	s_mul_hi_u32 s29, s30, s34
	s_mul_i32 s40, s30, s35
	s_mul_i32 s41, s30, s34
	s_add_i32 s29, s29, s40
	v_sub_co_u32 v1, s40, s22, s41
	s_mul_i32 s39, s31, s34
	s_add_i32 s29, s29, s39
	v_sub_co_u32 v2, s41, v1, s30
	s_sub_i32 s39, s23, s29
	s_cmp_lg_u32 s40, 0
	s_subb_u32 s39, s39, s31
	s_cmp_lg_u32 s41, 0
	v_readfirstlane_b32 s41, v2
	s_subb_u32 s39, s39, 0
	s_cmp_ge_u32 s39, s31
	s_cselect_b32 s42, -1, 0
	s_cmp_ge_u32 s41, s30
	s_cselect_b32 s41, -1, 0
	s_cmp_eq_u32 s39, s31
	s_cselect_b32 s39, s41, s42
	s_add_u32 s41, s34, 1
	s_addc_u32 s42, s35, 0
	s_add_u32 s43, s34, 2
	s_addc_u32 s44, s35, 0
	s_cmp_lg_u32 s39, 0
	s_cselect_b32 s39, s43, s41
	s_cselect_b32 s41, s44, s42
	s_cmp_lg_u32 s40, 0
	v_readfirstlane_b32 s40, v1
	s_subb_u32 s29, s23, s29
	s_cmp_ge_u32 s29, s31
	s_cselect_b32 s42, -1, 0
	s_cmp_ge_u32 s40, s30
	s_cselect_b32 s40, -1, 0
	s_cmp_eq_u32 s29, s31
	s_cselect_b32 s29, s40, s42
	s_cmp_lg_u32 s29, 0
	s_mov_b32 s29, 0
	s_cselect_b32 s35, s41, s35
	s_cselect_b32 s34, s39, s34
.LBB0_6:                                ;   in Loop: Header=BB0_4 Depth=1
	s_andn2_b32 vcc_lo, exec_lo, s29
	s_cbranch_vccnz .LBB0_8
; %bb.7:                                ;   in Loop: Header=BB0_4 Depth=1
	v_cvt_f32_u32_e32 v1, s30
	s_sub_i32 s34, 0, s30
	v_rcp_iflag_f32_e32 v1, v1
	v_mul_f32_e32 v1, 0x4f7ffffe, v1
	v_cvt_u32_f32_e32 v1, v1
	v_readfirstlane_b32 s29, v1
	s_mul_i32 s34, s34, s29
	s_mul_hi_u32 s34, s29, s34
	s_add_i32 s29, s29, s34
	s_mul_hi_u32 s29, s22, s29
	s_mul_i32 s34, s29, s30
	s_add_i32 s35, s29, 1
	s_sub_i32 s34, s22, s34
	s_sub_i32 s39, s34, s30
	s_cmp_ge_u32 s34, s30
	s_cselect_b32 s29, s35, s29
	s_cselect_b32 s34, s39, s34
	s_add_i32 s35, s29, 1
	s_cmp_ge_u32 s34, s30
	s_cselect_b32 s34, s35, s29
	s_mov_b32 s35, s28
.LBB0_8:                                ;   in Loop: Header=BB0_4 Depth=1
	s_load_dwordx2 s[40:41], s[24:25], 0x0
	s_mul_i32 s21, s30, s21
	s_mul_hi_u32 s29, s30, s20
	s_mul_i32 s39, s31, s20
	s_mul_i32 s31, s34, s31
	s_mul_hi_u32 s42, s34, s30
	s_mul_i32 s43, s35, s30
	s_add_i32 s21, s29, s21
	s_add_i32 s29, s42, s31
	s_mul_i32 s44, s34, s30
	s_add_i32 s21, s21, s39
	s_add_i32 s29, s29, s43
	s_sub_u32 s22, s22, s44
	s_subb_u32 s23, s23, s29
	s_mul_i32 s20, s30, s20
	s_waitcnt lgkmcnt(0)
	s_mul_i32 s23, s40, s23
	s_mul_hi_u32 s29, s40, s22
	s_add_i32 s23, s29, s23
	s_mul_i32 s29, s41, s22
	s_mul_i32 s22, s40, s22
	s_add_i32 s23, s23, s29
	s_add_u32 s38, s22, s38
	s_addc_u32 s37, s23, s37
	s_add_u32 s26, s26, 1
	s_addc_u32 s27, s27, 0
	s_add_u32 s24, s24, 8
	v_cmp_ge_u64_e64 s22, s[26:27], s[14:15]
	s_addc_u32 s25, s25, 0
	s_add_u32 s0, s0, 8
	s_addc_u32 s1, s1, 0
	s_and_b32 vcc_lo, exec_lo, s22
	s_cbranch_vccnz .LBB0_10
; %bb.9:                                ;   in Loop: Header=BB0_4 Depth=1
	s_mov_b64 s[22:23], s[34:35]
	s_branch .LBB0_4
.LBB0_10:
	v_cmp_lt_u64_e64 s0, s[6:7], s[20:21]
	s_mov_b64 s[22:23], 0
	s_and_b32 vcc_lo, exec_lo, s0
	s_cbranch_vccnz .LBB0_12
; %bb.11:
	v_cvt_f32_u32_e32 v1, s20
	s_sub_i32 s1, 0, s20
	v_rcp_iflag_f32_e32 v1, v1
	v_mul_f32_e32 v1, 0x4f7ffffe, v1
	v_cvt_u32_f32_e32 v1, v1
	v_readfirstlane_b32 s0, v1
	s_mul_i32 s1, s1, s0
	s_mul_hi_u32 s1, s0, s1
	s_add_i32 s0, s0, s1
	s_mul_hi_u32 s0, s6, s0
	s_mul_i32 s1, s0, s20
	s_sub_i32 s1, s6, s1
	s_add_i32 s6, s0, 1
	s_sub_i32 s7, s1, s20
	s_cmp_ge_u32 s1, s20
	s_cselect_b32 s0, s6, s0
	s_cselect_b32 s1, s7, s1
	s_add_i32 s6, s0, 1
	s_cmp_ge_u32 s1, s20
	s_cselect_b32 s22, s6, s0
.LBB0_12:
	s_lshl_b64 s[0:1], s[14:15], 3
	v_mul_u32_u24_e32 v1, 0x1c72, v0
	s_add_u32 s0, s2, s0
	s_addc_u32 s1, s3, s1
                                        ; implicit-def: $vgpr18
                                        ; implicit-def: $vgpr2
                                        ; implicit-def: $vgpr20
                                        ; implicit-def: $vgpr14
                                        ; implicit-def: $vgpr12
                                        ; implicit-def: $vgpr8
                                        ; implicit-def: $vgpr4
                                        ; implicit-def: $vgpr6
                                        ; implicit-def: $vgpr10
                                        ; implicit-def: $vgpr16
                                        ; implicit-def: $vgpr22
                                        ; implicit-def: $vgpr24
                                        ; implicit-def: $vgpr26
	s_load_dwordx2 s[0:1], s[0:1], 0x0
	v_lshrrev_b32_e32 v51, 16, v1
	v_mul_lo_u16 v1, v51, 9
	v_sub_nc_u16 v1, v0, v1
	v_and_b32_e32 v52, 0xffff, v1
	s_waitcnt lgkmcnt(0)
	s_mul_i32 s1, s1, s22
	s_mul_hi_u32 s2, s0, s22
	s_mul_i32 s0, s0, s22
	v_add_co_u32 v49, s3, s36, v52
	s_add_i32 s1, s2, s1
	v_add_co_ci_u32_e64 v50, null, s33, 0, s3
	s_add_u32 s2, s0, s38
	s_addc_u32 s3, s1, s37
	s_add_u32 s0, s36, 9
	s_addc_u32 s1, s33, 0
	v_cmp_gt_u64_e32 vcc_lo, s[18:19], v[49:50]
	v_cmp_le_u64_e64 s6, s[0:1], s[18:19]
                                        ; kill: def $vgpr1 killed $sgpr0 killed $exec
	s_or_b32 s0, s6, vcc_lo
	s_and_saveexec_b32 s1, s0
	s_cbranch_execz .LBB0_14
; %bb.13:
	v_mad_u64_u32 v[1:2], null, s10, v52, 0
	v_mad_u64_u32 v[3:4], null, s8, v51, 0
	v_add_nc_u32_e32 v10, 16, v51
	v_or_b32_e32 v13, 32, v51
	s_lshl_b64 s[14:15], s[2:3], 3
	v_add_nc_u32_e32 v14, 48, v51
	s_add_u32 s0, s4, s14
	v_mad_u64_u32 v[5:6], null, s8, v10, 0
	v_mad_u64_u32 v[7:8], null, s11, v52, v[2:3]
	v_mov_b32_e32 v2, v4
	s_addc_u32 s7, s5, s15
	v_mad_u64_u32 v[11:12], null, s8, v14, 0
	v_mov_b32_e32 v4, v6
	v_mad_u64_u32 v[8:9], null, s9, v51, v[2:3]
	v_mov_b32_e32 v2, v7
	v_or_b32_e32 v17, 64, v51
	v_mad_u64_u32 v[6:7], null, s9, v10, v[4:5]
	v_mad_u64_u32 v[9:10], null, s8, v13, 0
	v_lshlrev_b64 v[1:2], 3, v[1:2]
	v_mov_b32_e32 v4, v8
	v_mad_u64_u32 v[15:16], null, s8, v17, 0
	v_or_b32_e32 v23, 0x60, v51
	v_add_nc_u32_e32 v24, 0x70, v51
	v_add_co_u32 v34, s0, s0, v1
	v_add_co_ci_u32_e64 v35, s0, s7, v2, s0
	v_lshlrev_b64 v[1:2], 3, v[3:4]
	v_lshlrev_b64 v[4:5], 3, v[5:6]
	v_mov_b32_e32 v3, v10
	v_mov_b32_e32 v6, v12
	v_mad_u64_u32 v[21:22], null, s8, v23, 0
	v_add_co_u32 v1, s0, v34, v1
	v_mad_u64_u32 v[7:8], null, s9, v13, v[3:4]
	v_add_co_ci_u32_e64 v2, s0, v35, v2, s0
	v_add_co_u32 v3, s0, v34, v4
	v_add_co_ci_u32_e64 v4, s0, v35, v5, s0
	v_mov_b32_e32 v10, v7
	v_mad_u64_u32 v[12:13], null, s9, v14, v[6:7]
	v_mov_b32_e32 v5, v16
	v_add_nc_u32_e32 v13, 0x50, v51
	v_lshlrev_b64 v[6:7], 3, v[9:10]
	v_add_nc_u32_e32 v29, 0x90, v51
	v_or_b32_e32 v31, 0xa0, v51
	v_add_nc_u32_e32 v36, 0xb0, v51
	v_lshlrev_b64 v[8:9], 3, v[11:12]
	v_or_b32_e32 v37, 0xc0, v51
	v_mad_u64_u32 v[10:11], null, s9, v17, v[5:6]
	v_mad_u64_u32 v[11:12], null, s8, v13, 0
	v_add_co_u32 v5, s0, v34, v6
	v_add_co_ci_u32_e64 v6, s0, v35, v7, s0
	v_add_co_u32 v7, s0, v34, v8
	v_add_co_ci_u32_e64 v8, s0, v35, v9, s0
	v_mov_b32_e32 v9, v12
	v_mov_b32_e32 v16, v10
	v_mad_u64_u32 v[25:26], null, s8, v31, 0
	v_mad_u64_u32 v[9:10], null, s9, v13, v[9:10]
	s_clause 0x3
	global_load_dwordx2 v[17:18], v[1:2], off
	global_load_dwordx2 v[1:2], v[3:4], off
	;; [unrolled: 1-line block ×4, first 2 shown]
	v_mad_u64_u32 v[6:7], null, s8, v24, 0
	v_mov_b32_e32 v5, v22
	v_lshlrev_b64 v[3:4], 3, v[15:16]
	v_mov_b32_e32 v12, v9
	v_mad_u64_u32 v[8:9], null, s9, v23, v[5:6]
	v_mov_b32_e32 v5, v7
	v_lshlrev_b64 v[9:10], 3, v[11:12]
	v_or_b32_e32 v12, 0x80, v51
	v_add_co_u32 v3, s0, v34, v3
	v_add_co_ci_u32_e64 v4, s0, v35, v4, s0
	v_mov_b32_e32 v22, v8
	v_mad_u64_u32 v[7:8], null, s9, v24, v[5:6]
	v_mad_u64_u32 v[15:16], null, s8, v12, 0
	v_add_co_u32 v8, s0, v34, v9
	v_add_co_ci_u32_e64 v9, s0, v35, v10, s0
	v_lshlrev_b64 v[10:11], 3, v[21:22]
	v_lshlrev_b64 v[6:7], 3, v[6:7]
	v_mov_b32_e32 v5, v16
	v_mad_u64_u32 v[21:22], null, s8, v29, 0
	v_add_co_u32 v23, s0, v34, v10
	v_add_co_ci_u32_e64 v24, s0, v35, v11, s0
	v_mad_u64_u32 v[10:11], null, s9, v12, v[5:6]
	v_mov_b32_e32 v5, v22
	v_add_co_u32 v27, s0, v34, v6
	v_add_co_ci_u32_e64 v28, s0, v35, v7, s0
	v_mov_b32_e32 v16, v10
	v_mad_u64_u32 v[10:11], null, s9, v29, v[5:6]
	v_mov_b32_e32 v5, v26
	v_mad_u64_u32 v[29:30], null, s8, v36, 0
	v_lshlrev_b64 v[15:16], 3, v[15:16]
	v_mad_u64_u32 v[31:32], null, s9, v31, v[5:6]
	s_clause 0x3
	global_load_dwordx2 v[11:12], v[3:4], off
	global_load_dwordx2 v[7:8], v[8:9], off
	;; [unrolled: 1-line block ×4, first 2 shown]
	v_mad_u64_u32 v[32:33], null, s8, v37, 0
	v_mov_b32_e32 v9, v30
	v_mov_b32_e32 v22, v10
	v_add_co_u32 v15, s0, v34, v15
	v_mov_b32_e32 v26, v31
	v_mad_u64_u32 v[9:10], null, s9, v36, v[9:10]
	v_mov_b32_e32 v10, v33
	v_lshlrev_b64 v[21:22], 3, v[21:22]
	v_add_co_ci_u32_e64 v16, s0, v35, v16, s0
	v_mov_b32_e32 v30, v9
	v_add_co_u32 v21, s0, v34, v21
	v_add_co_ci_u32_e64 v22, s0, v35, v22, s0
	s_waitcnt vmcnt(3)
	v_mad_u64_u32 v[23:24], null, s9, v37, v[10:11]
	v_lshlrev_b64 v[24:25], 3, v[25:26]
	v_lshlrev_b64 v[9:10], 3, v[29:30]
	v_mov_b32_e32 v33, v23
	v_add_co_u32 v23, s0, v34, v24
	v_add_co_ci_u32_e64 v24, s0, v35, v25, s0
	v_lshlrev_b64 v[25:26], 3, v[32:33]
	v_add_co_u32 v27, s0, v34, v9
	v_add_co_ci_u32_e64 v28, s0, v35, v10, s0
	v_add_co_u32 v25, s0, v34, v25
	v_add_co_ci_u32_e64 v26, s0, v35, v26, s0
	s_clause 0x4
	global_load_dwordx2 v[9:10], v[15:16], off
	global_load_dwordx2 v[15:16], v[21:22], off
	;; [unrolled: 1-line block ×5, first 2 shown]
.LBB0_14:
	s_or_b32 exec_lo, exec_lo, s1
	v_add_f32_e32 v27, v17, v1
	v_add_f32_e32 v28, v18, v2
	s_waitcnt vmcnt(0)
	v_sub_f32_e32 v30, v2, v26
	v_add_f32_e32 v32, v2, v26
	v_add_f32_e32 v29, v1, v25
	;; [unrolled: 1-line block ×4, first 2 shown]
	v_sub_f32_e32 v31, v1, v25
	v_mul_f32_e32 v1, 0xbeedf032, v30
	v_mul_f32_e32 v33, 0xbf52af12, v30
	v_add_f32_e32 v2, v27, v13
	v_add_f32_e32 v27, v28, v14
	v_mul_f32_e32 v28, 0xbeedf032, v31
	v_fmamk_f32 v38, v29, 0x3f62ad3f, v1
	v_fma_f32 v1, 0x3f62ad3f, v29, -v1
	v_add_f32_e32 v2, v2, v11
	v_add_f32_e32 v27, v27, v12
	v_mul_f32_e32 v34, 0xbf52af12, v31
	v_mul_f32_e32 v35, 0xbf7e222b, v30
	v_add_f32_e32 v44, v17, v1
	v_add_f32_e32 v2, v2, v7
	v_add_f32_e32 v27, v27, v8
	v_mul_f32_e32 v36, 0xbf7e222b, v31
	v_sub_f32_e32 v53, v20, v24
	v_mul_f32_e32 v37, 0xbf6f5d39, v30
	v_add_f32_e32 v2, v2, v3
	v_add_f32_e32 v27, v27, v4
	v_fma_f32 v39, 0x3f62ad3f, v32, -v28
	v_fmac_f32_e32 v28, 0x3f62ad3f, v32
	v_fmamk_f32 v40, v29, 0x3f116cb1, v33
	v_add_f32_e32 v2, v2, v5
	v_add_f32_e32 v27, v27, v6
	v_fma_f32 v41, 0x3f116cb1, v32, -v34
	v_fmamk_f32 v42, v29, 0x3df6dbef, v35
	v_fma_f32 v43, 0x3df6dbef, v32, -v36
	v_add_f32_e32 v2, v2, v9
	v_add_f32_e32 v27, v27, v10
	v_mul_f32_e32 v45, 0xbf29c268, v30
	v_mul_f32_e32 v46, 0xbf29c268, v31
	;; [unrolled: 1-line block ×3, first 2 shown]
	v_add_f32_e32 v2, v2, v15
	v_add_f32_e32 v27, v27, v16
	;; [unrolled: 1-line block ×3, first 2 shown]
	v_mul_f32_e32 v56, 0xbf52af12, v53
	v_sub_f32_e32 v19, v19, v23
	v_add_f32_e32 v1, v2, v21
	v_add_f32_e32 v2, v27, v22
	v_fma_f32 v33, 0x3f116cb1, v29, -v33
	v_fmac_f32_e32 v34, 0x3f116cb1, v32
	v_fma_f32 v35, 0x3df6dbef, v29, -v35
	v_add_f32_e32 v1, v1, v23
	v_add_f32_e32 v2, v2, v24
	v_fmac_f32_e32 v36, 0x3df6dbef, v32
	v_add_f32_e32 v38, v17, v38
	v_add_f32_e32 v27, v18, v28
	;; [unrolled: 1-line block ×4, first 2 shown]
	v_mul_f32_e32 v26, 0xbf6f5d39, v31
	v_mul_f32_e32 v31, 0xbe750f2a, v31
	v_add_f32_e32 v40, v18, v41
	v_add_f32_e32 v41, v17, v42
	;; [unrolled: 1-line block ×3, first 2 shown]
	v_fmamk_f32 v25, v29, 0xbeb58ec6, v37
	v_add_f32_e32 v42, v18, v43
	v_fma_f32 v43, 0xbeb58ec6, v32, -v26
	v_fma_f32 v37, 0xbeb58ec6, v29, -v37
	v_fmac_f32_e32 v26, 0xbeb58ec6, v32
	v_fmamk_f32 v47, v29, 0xbf3f9e67, v45
	v_fma_f32 v48, 0xbf3f9e67, v32, -v46
	v_fma_f32 v45, 0xbf3f9e67, v29, -v45
	v_fmac_f32_e32 v46, 0xbf3f9e67, v32
	v_fmamk_f32 v50, v29, 0xbf788fa5, v30
	v_fma_f32 v54, 0xbf788fa5, v32, -v31
	v_fma_f32 v23, 0xbf788fa5, v29, -v30
	v_fmac_f32_e32 v31, 0xbf788fa5, v32
	v_add_f32_e32 v20, v20, v24
	v_fmamk_f32 v24, v55, 0x3f116cb1, v56
	v_mul_f32_e32 v29, 0xbf52af12, v19
	v_add_f32_e32 v39, v18, v39
	v_add_f32_e32 v33, v17, v33
	v_add_f32_e32 v34, v18, v34
	v_add_f32_e32 v35, v17, v35
	v_add_f32_e32 v36, v18, v36
	v_add_f32_e32 v25, v17, v25
	v_add_f32_e32 v43, v18, v43
	v_add_f32_e32 v37, v17, v37
	v_add_f32_e32 v26, v18, v26
	v_add_f32_e32 v47, v17, v47
	v_add_f32_e32 v48, v18, v48
	v_add_f32_e32 v45, v17, v45
	v_add_f32_e32 v46, v18, v46
	v_add_f32_e32 v50, v17, v50
	v_add_f32_e32 v30, v18, v54
	v_add_f32_e32 v17, v17, v23
	v_add_f32_e32 v18, v18, v31
	v_add_f32_e32 v23, v24, v38
	v_fma_f32 v24, 0x3f116cb1, v20, -v29
	v_mul_f32_e32 v31, 0xbf6f5d39, v53
	v_fma_f32 v32, 0x3f116cb1, v55, -v56
	v_fmac_f32_e32 v29, 0x3f116cb1, v20
	v_mul_f32_e32 v38, 0xbf6f5d39, v19
	v_add_f32_e32 v24, v24, v39
	v_fmamk_f32 v39, v55, 0xbeb58ec6, v31
	v_add_f32_e32 v32, v32, v44
	v_add_f32_e32 v27, v29, v27
	v_fma_f32 v29, 0xbeb58ec6, v20, -v38
	v_mul_f32_e32 v44, 0xbe750f2a, v53
	v_add_f32_e32 v28, v39, v28
	v_fma_f32 v31, 0xbeb58ec6, v55, -v31
	v_fmac_f32_e32 v38, 0xbeb58ec6, v20
	v_add_f32_e32 v29, v29, v40
	v_fmamk_f32 v39, v55, 0xbf788fa5, v44
	v_mul_f32_e32 v40, 0xbe750f2a, v19
	v_add_f32_e32 v31, v31, v33
	v_add_f32_e32 v33, v38, v34
	v_mul_f32_e32 v34, 0x3f29c268, v53
	v_add_f32_e32 v38, v39, v41
	v_fma_f32 v39, 0xbf788fa5, v20, -v40
	v_fma_f32 v41, 0xbf788fa5, v55, -v44
	v_fmac_f32_e32 v40, 0xbf788fa5, v20
	v_mul_f32_e32 v54, 0x3f29c268, v19
	v_fmamk_f32 v44, v55, 0xbf3f9e67, v34
	v_add_f32_e32 v39, v39, v42
	v_add_f32_e32 v35, v41, v35
	;; [unrolled: 1-line block ×3, first 2 shown]
	v_fma_f32 v40, 0xbf3f9e67, v20, -v54
	v_mul_f32_e32 v41, 0x3f7e222b, v53
	v_add_f32_e32 v25, v44, v25
	v_fma_f32 v34, 0xbf3f9e67, v55, -v34
	v_mul_f32_e32 v42, 0x3f7e222b, v19
	v_add_f32_e32 v40, v40, v43
	v_fmamk_f32 v43, v55, 0x3df6dbef, v41
	v_mul_f32_e32 v44, 0x3eedf032, v53
	v_fma_f32 v41, 0x3df6dbef, v55, -v41
	v_add_f32_e32 v34, v34, v37
	v_fma_f32 v37, 0x3df6dbef, v20, -v42
	v_add_f32_e32 v43, v43, v47
	v_fmac_f32_e32 v42, 0x3df6dbef, v20
	v_fmamk_f32 v47, v55, 0x3f62ad3f, v44
	v_add_f32_e32 v41, v41, v45
	v_sub_f32_e32 v45, v14, v22
	v_add_f32_e32 v37, v37, v48
	v_mul_f32_e32 v19, 0x3eedf032, v19
	v_add_f32_e32 v42, v42, v46
	v_add_f32_e32 v46, v47, v50
	;; [unrolled: 1-line block ×3, first 2 shown]
	v_mul_f32_e32 v50, 0xbf7e222b, v45
	v_sub_f32_e32 v13, v13, v21
	v_fmac_f32_e32 v54, 0xbf3f9e67, v20
	v_fma_f32 v47, 0x3f62ad3f, v20, -v19
	v_fma_f32 v21, 0x3f62ad3f, v55, -v44
	v_fmac_f32_e32 v19, 0x3f62ad3f, v20
	v_add_f32_e32 v14, v14, v22
	v_fmamk_f32 v20, v48, 0x3df6dbef, v50
	v_mul_f32_e32 v22, 0xbf7e222b, v13
	v_add_f32_e32 v17, v21, v17
	v_add_f32_e32 v18, v19, v18
	v_mul_f32_e32 v21, 0xbe750f2a, v45
	v_add_f32_e32 v19, v20, v23
	v_fma_f32 v20, 0x3df6dbef, v14, -v22
	v_fma_f32 v23, 0x3df6dbef, v48, -v50
	v_fmac_f32_e32 v22, 0x3df6dbef, v14
	v_mul_f32_e32 v44, 0xbe750f2a, v13
	v_add_f32_e32 v30, v47, v30
	v_add_f32_e32 v20, v20, v24
	v_fmamk_f32 v24, v48, 0xbf788fa5, v21
	v_add_f32_e32 v23, v23, v32
	v_add_f32_e32 v22, v22, v27
	v_fma_f32 v27, 0xbf788fa5, v14, -v44
	v_mul_f32_e32 v32, 0x3f6f5d39, v45
	v_add_f32_e32 v24, v24, v28
	v_mul_f32_e32 v47, 0x3eedf032, v13
	v_fma_f32 v21, 0xbf788fa5, v48, -v21
	v_add_f32_e32 v27, v27, v29
	v_fmamk_f32 v28, v48, 0xbeb58ec6, v32
	v_mul_f32_e32 v29, 0x3f6f5d39, v13
	v_fma_f32 v32, 0xbeb58ec6, v48, -v32
	v_fmac_f32_e32 v44, 0xbf788fa5, v14
	v_add_f32_e32 v21, v21, v31
	v_add_f32_e32 v28, v28, v38
	v_fma_f32 v38, 0xbeb58ec6, v14, -v29
	v_fmac_f32_e32 v29, 0xbeb58ec6, v14
	v_add_f32_e32 v32, v32, v35
	v_fma_f32 v35, 0x3f62ad3f, v14, -v47
	v_add_f32_e32 v31, v44, v33
	v_mul_f32_e32 v33, 0x3eedf032, v45
	v_add_f32_e32 v29, v29, v36
	v_mul_f32_e32 v36, 0xbf52af12, v45
	v_add_f32_e32 v35, v35, v40
	v_add_f32_e32 v38, v38, v39
	v_fmamk_f32 v44, v48, 0x3f62ad3f, v33
	v_fma_f32 v33, 0x3f62ad3f, v48, -v33
	v_fmamk_f32 v40, v48, 0x3f116cb1, v36
	v_fma_f32 v36, 0x3f116cb1, v48, -v36
	v_mul_f32_e32 v39, 0xbf52af12, v13
	v_add_f32_e32 v25, v44, v25
	v_add_f32_e32 v33, v33, v34
	v_mul_f32_e32 v44, 0xbf29c268, v45
	v_add_f32_e32 v36, v36, v41
	v_sub_f32_e32 v41, v12, v16
	v_fma_f32 v34, 0x3f116cb1, v14, -v39
	v_add_f32_e32 v40, v40, v43
	v_fmac_f32_e32 v39, 0x3f116cb1, v14
	v_mul_f32_e32 v13, 0xbf29c268, v13
	v_add_f32_e32 v43, v11, v15
	v_mul_f32_e32 v45, 0xbf6f5d39, v41
	v_sub_f32_e32 v11, v11, v15
	v_fmac_f32_e32 v47, 0x3f62ad3f, v14
	v_add_f32_e32 v39, v39, v42
	v_fma_f32 v42, 0xbf3f9e67, v14, -v13
	v_fma_f32 v15, 0xbf3f9e67, v48, -v44
	v_fmac_f32_e32 v13, 0xbf3f9e67, v14
	v_add_f32_e32 v12, v12, v16
	v_fmamk_f32 v14, v43, 0xbeb58ec6, v45
	v_mul_f32_e32 v16, 0xbf6f5d39, v11
	v_add_f32_e32 v30, v42, v30
	v_add_f32_e32 v15, v15, v17
	;; [unrolled: 1-line block ×4, first 2 shown]
	v_fma_f32 v17, 0xbeb58ec6, v12, -v16
	v_mul_f32_e32 v18, 0x3f29c268, v41
	v_fma_f32 v19, 0xbeb58ec6, v43, -v45
	v_fmac_f32_e32 v16, 0xbeb58ec6, v12
	v_mul_f32_e32 v42, 0x3f29c268, v11
	v_add_f32_e32 v17, v17, v20
	v_fmamk_f32 v20, v43, 0xbf3f9e67, v18
	v_add_f32_e32 v19, v19, v23
	v_add_f32_e32 v16, v16, v22
	v_fma_f32 v22, 0xbf3f9e67, v12, -v42
	v_mul_f32_e32 v23, 0x3eedf032, v41
	v_add_f32_e32 v20, v20, v24
	v_add_f32_e32 v34, v34, v37
	v_fmamk_f32 v37, v48, 0xbf3f9e67, v44
	v_add_f32_e32 v22, v22, v27
	v_fmamk_f32 v24, v43, 0x3f62ad3f, v23
	v_mul_f32_e32 v27, 0x3eedf032, v11
	v_fma_f32 v18, 0xbf3f9e67, v43, -v18
	v_fmac_f32_e32 v42, 0xbf3f9e67, v12
	v_fma_f32 v23, 0x3f62ad3f, v43, -v23
	v_add_f32_e32 v24, v24, v28
	v_fma_f32 v28, 0x3f62ad3f, v12, -v27
	v_fmac_f32_e32 v27, 0x3f62ad3f, v12
	v_mul_f32_e32 v44, 0xbf7e222b, v11
	v_add_f32_e32 v18, v18, v21
	v_add_f32_e32 v21, v42, v31
	v_mul_f32_e32 v31, 0xbf7e222b, v41
	v_add_f32_e32 v23, v23, v32
	v_add_f32_e32 v27, v27, v29
	v_fma_f32 v29, 0x3df6dbef, v12, -v44
	v_mul_f32_e32 v32, 0x3e750f2a, v41
	v_fmamk_f32 v42, v43, 0x3df6dbef, v31
	v_add_f32_e32 v28, v28, v38
	v_fma_f32 v31, 0x3df6dbef, v43, -v31
	v_mul_f32_e32 v38, 0x3e750f2a, v11
	v_add_f32_e32 v29, v29, v35
	v_fmamk_f32 v35, v43, 0xbf788fa5, v32
	v_fma_f32 v32, 0xbf788fa5, v43, -v32
	v_add_f32_e32 v31, v31, v33
	v_fma_f32 v33, 0xbf788fa5, v12, -v38
	v_mul_f32_e32 v41, 0x3f52af12, v41
	v_fmac_f32_e32 v38, 0xbf788fa5, v12
	v_add_f32_e32 v32, v32, v36
	v_sub_f32_e32 v36, v8, v10
	v_add_f32_e32 v37, v37, v46
	v_add_f32_e32 v35, v35, v40
	;; [unrolled: 1-line block ×3, first 2 shown]
	v_fmamk_f32 v34, v43, 0x3f116cb1, v41
	v_mul_f32_e32 v11, 0x3f52af12, v11
	v_add_f32_e32 v38, v38, v39
	v_add_f32_e32 v39, v7, v9
	v_mul_f32_e32 v40, 0xbf29c268, v36
	v_sub_f32_e32 v7, v7, v9
	v_fmac_f32_e32 v44, 0x3df6dbef, v12
	v_add_f32_e32 v34, v34, v37
	v_fma_f32 v37, 0x3f116cb1, v12, -v11
	v_fma_f32 v9, 0x3f116cb1, v43, -v41
	v_fmac_f32_e32 v11, 0x3f116cb1, v12
	v_add_f32_e32 v8, v8, v10
	v_fmamk_f32 v10, v39, 0xbf3f9e67, v40
	v_mul_f32_e32 v12, 0xbf29c268, v7
	v_add_f32_e32 v30, v37, v30
	v_add_f32_e32 v9, v9, v15
	;; [unrolled: 1-line block ×4, first 2 shown]
	v_fma_f32 v13, 0xbf3f9e67, v8, -v12
	v_mul_f32_e32 v14, 0x3f7e222b, v36
	v_fma_f32 v15, 0xbf3f9e67, v39, -v40
	v_fmac_f32_e32 v12, 0xbf3f9e67, v8
	v_mul_f32_e32 v37, 0x3f7e222b, v7
	v_add_f32_e32 v13, v13, v17
	v_fmamk_f32 v17, v39, 0x3df6dbef, v14
	v_add_f32_e32 v15, v15, v19
	v_add_f32_e32 v12, v12, v16
	v_fma_f32 v16, 0x3df6dbef, v8, -v37
	v_mul_f32_e32 v19, 0xbf52af12, v36
	v_fma_f32 v14, 0x3df6dbef, v39, -v14
	v_fmac_f32_e32 v37, 0x3df6dbef, v8
	v_add_f32_e32 v26, v54, v26
	v_add_f32_e32 v17, v17, v20
	;; [unrolled: 1-line block ×3, first 2 shown]
	v_fmamk_f32 v20, v39, 0x3f116cb1, v19
	v_mul_f32_e32 v22, 0xbf52af12, v7
	v_add_f32_e32 v14, v14, v18
	v_add_f32_e32 v18, v37, v21
	v_mul_f32_e32 v21, 0x3e750f2a, v36
	v_add_f32_e32 v26, v47, v26
	v_add_f32_e32 v25, v42, v25
	;; [unrolled: 1-line block ×3, first 2 shown]
	v_fma_f32 v24, 0x3f116cb1, v8, -v22
	v_fma_f32 v19, 0x3f116cb1, v39, -v19
	v_fmac_f32_e32 v22, 0x3f116cb1, v8
	v_fmamk_f32 v37, v39, 0xbf788fa5, v21
	v_mul_f32_e32 v40, 0x3e750f2a, v7
	v_add_f32_e32 v26, v44, v26
	v_add_f32_e32 v28, v24, v28
	;; [unrolled: 1-line block ×5, first 2 shown]
	v_fma_f32 v23, 0xbf788fa5, v8, -v40
	v_mul_f32_e32 v24, 0x3eedf032, v36
	v_fma_f32 v21, 0xbf788fa5, v39, -v21
	v_mul_f32_e32 v25, 0x3eedf032, v7
	v_fmac_f32_e32 v40, 0xbf788fa5, v8
	v_add_f32_e32 v29, v23, v29
	v_fmamk_f32 v23, v39, 0x3f62ad3f, v24
	v_add_f32_e32 v31, v21, v31
	v_fma_f32 v21, 0x3f62ad3f, v8, -v25
	v_add_f32_e32 v37, v40, v26
	v_mul_f32_e32 v26, 0xbf6f5d39, v36
	v_add_f32_e32 v35, v23, v35
	v_fma_f32 v23, 0x3f62ad3f, v39, -v24
	v_add_f32_e32 v33, v21, v33
	v_mul_f32_e32 v7, 0xbf6f5d39, v7
	v_fmamk_f32 v21, v39, 0xbeb58ec6, v26
	v_sub_f32_e32 v36, v4, v6
	v_add_f32_e32 v32, v23, v32
	v_add_f32_e32 v40, v3, v5
	v_sub_f32_e32 v41, v3, v5
	v_add_f32_e32 v34, v21, v34
	v_fma_f32 v21, 0xbeb58ec6, v8, -v7
	v_mul_f32_e32 v23, 0xbe750f2a, v36
	v_fmac_f32_e32 v7, 0xbeb58ec6, v8
	v_fmac_f32_e32 v25, 0x3f62ad3f, v8
	v_fma_f32 v3, 0xbeb58ec6, v39, -v26
	v_add_f32_e32 v39, v4, v6
	v_fmamk_f32 v4, v40, 0xbf788fa5, v23
	v_mul_f32_e32 v5, 0xbe750f2a, v41
	v_add_f32_e32 v43, v7, v11
	v_mul_f32_e32 v6, 0x3eedf032, v36
	v_fma_f32 v7, 0xbf788fa5, v40, -v23
	v_mul_f32_e32 v8, 0x3eedf032, v41
	v_add_f32_e32 v38, v25, v38
	v_add_f32_e32 v42, v3, v9
	;; [unrolled: 1-line block ×3, first 2 shown]
	v_fma_f32 v4, 0xbf788fa5, v39, -v5
	v_fmac_f32_e32 v5, 0xbf788fa5, v39
	v_fmamk_f32 v9, v40, 0x3f62ad3f, v6
	v_add_f32_e32 v25, v7, v15
	v_fma_f32 v7, 0x3f62ad3f, v39, -v8
	v_fmac_f32_e32 v8, 0x3f62ad3f, v39
	v_mul_f32_e32 v11, 0xbf29c268, v41
	v_add_f32_e32 v26, v5, v12
	v_mul_f32_e32 v10, 0xbf29c268, v36
	v_add_f32_e32 v5, v9, v17
	v_fma_f32 v9, 0x3f62ad3f, v40, -v6
	v_add_f32_e32 v24, v8, v18
	v_mul_f32_e32 v12, 0x3f52af12, v36
	v_fma_f32 v8, 0xbf3f9e67, v39, -v11
	v_fmac_f32_e32 v11, 0xbf3f9e67, v39
	v_add_f32_e32 v4, v4, v13
	v_add_f32_e32 v6, v7, v16
	v_fmamk_f32 v7, v40, 0xbf3f9e67, v10
	v_add_f32_e32 v23, v9, v14
	v_fma_f32 v9, 0xbf3f9e67, v40, -v10
	v_fmamk_f32 v10, v40, 0x3f116cb1, v12
	v_mul_f32_e32 v13, 0x3f52af12, v41
	v_add_f32_e32 v22, v11, v22
	v_mul_f32_e32 v11, 0xbf6f5d39, v36
	v_add_f32_e32 v30, v21, v30
	v_add_f32_e32 v21, v9, v19
	;; [unrolled: 1-line block ×3, first 2 shown]
	v_fma_f32 v10, 0x3f116cb1, v39, -v13
	v_fmac_f32_e32 v13, 0x3f116cb1, v39
	v_fmamk_f32 v17, v40, 0xbeb58ec6, v11
	v_add_f32_e32 v7, v7, v20
	v_fma_f32 v12, 0x3f116cb1, v40, -v12
	v_mul_f32_e32 v14, 0xbf6f5d39, v41
	v_add_f32_e32 v16, v13, v37
	v_fma_f32 v13, 0xbeb58ec6, v40, -v11
	v_add_f32_e32 v11, v17, v35
	v_mul_f32_e32 v17, 0x3f7e222b, v36
	v_mul_f32_e32 v20, 0x3f7e222b, v41
	v_add_f32_e32 v8, v8, v28
	v_add_f32_e32 v15, v12, v31
	v_fma_f32 v12, 0xbeb58ec6, v39, -v14
	v_fmac_f32_e32 v14, 0xbeb58ec6, v39
	v_fmamk_f32 v18, v40, 0x3df6dbef, v17
	v_mad_u32_u24 v27, 0x3a8, v51, 0
	v_fma_f32 v19, 0x3df6dbef, v39, -v20
	v_fma_f32 v28, 0x3df6dbef, v40, -v17
	v_fmac_f32_e32 v20, 0x3df6dbef, v39
	v_add_f32_e32 v10, v10, v29
	v_add_f32_e32 v12, v12, v33
	v_add_f32_e32 v13, v13, v32
	v_add_f32_e32 v17, v18, v34
	v_lshl_add_u32 v29, v52, 3, v27
	v_add_f32_e32 v18, v19, v30
	v_add_f32_e32 v19, v28, v42
	;; [unrolled: 1-line block ×4, first 2 shown]
	v_cmp_gt_u32_e64 s0, 0x75, v0
	ds_write2_b64 v29, v[1:2], v[3:4] offset1:9
	ds_write2_b64 v29, v[5:6], v[7:8] offset0:18 offset1:27
	ds_write2_b64 v29, v[9:10], v[11:12] offset0:36 offset1:45
	;; [unrolled: 1-line block ×5, first 2 shown]
	ds_write_b64 v29, v[25:26] offset:864
	s_waitcnt lgkmcnt(0)
	s_barrier
	buffer_gl0_inv
                                        ; implicit-def: $vgpr30
	s_and_saveexec_b32 s1, s0
	s_cbranch_execz .LBB0_16
; %bb.15:
	v_mul_i32_i24_e32 v0, 0xfffffca0, v51
	v_lshlrev_b32_e32 v1, 3, v52
	v_add3_u32 v0, v27, v0, v1
	v_add_nc_u32_e32 v5, 0x400, v0
	v_add_nc_u32_e32 v9, 0xc00, v0
	;; [unrolled: 1-line block ×6, first 2 shown]
	ds_read2_b64 v[1:4], v0 offset1:117
	v_add_nc_u32_e32 v0, 0x3000, v0
	ds_read2_b64 v[5:8], v5 offset0:106 offset1:223
	ds_read2_b64 v[9:12], v9 offset0:84 offset1:201
	;; [unrolled: 1-line block ×7, first 2 shown]
.LBB0_16:
	s_or_b32 exec_lo, exec_lo, s1
	v_mul_lo_u16 v0, v51, 20
	v_mov_b32_e32 v53, 3
	s_and_b32 s1, s0, s6
	v_lshrrev_b16 v0, 8, v0
	v_mul_lo_u16 v0, v0, 13
	v_sub_nc_u16 v0, v51, v0
	v_and_b32_e32 v50, 0xff, v0
	v_mul_u32_u24_e32 v0, 15, v50
	v_add_nc_u32_e32 v54, 26, v50
	v_mul_lo_u32 v55, v49, v50
	v_add_nc_u32_e32 v67, 39, v50
	v_add_nc_u32_e32 v68, 52, v50
	v_lshlrev_b32_e32 v56, 3, v0
	v_add_nc_u32_e32 v0, 13, v50
	v_mul_lo_u32 v72, v49, v54
	v_add_nc_u32_e32 v69, 0x41, v50
	v_mul_lo_u32 v73, v49, v67
	s_clause 0x6
	global_load_dwordx2 v[65:66], v56, s[16:17] offset:112
	global_load_dwordx4 v[57:60], v56, s[16:17] offset:96
	global_load_dwordx4 v[45:48], v56, s[16:17] offset:80
	;; [unrolled: 1-line block ×6, first 2 shown]
	v_mul_lo_u32 v71, v49, v0
	v_mul_lo_u32 v74, v49, v68
	;; [unrolled: 1-line block ×3, first 2 shown]
	v_bfe_u32 v69, v55, 8, 8
	v_lshlrev_b32_sdwa v70, v53, v55 dst_sel:DWORD dst_unused:UNUSED_PAD src0_sel:DWORD src1_sel:BYTE_0
	v_bfe_u32 v76, v75, 8, 8
	s_waitcnt vmcnt(6) lgkmcnt(0)
	v_mul_f32_e32 v0, v32, v66
	s_waitcnt vmcnt(5)
	v_mul_f32_e32 v54, v30, v60
	v_mul_f32_e32 v60, v29, v60
	;; [unrolled: 1-line block ×3, first 2 shown]
	v_fmac_f32_e32 v0, v31, v65
	v_fmac_f32_e32 v54, v29, v59
	v_fma_f32 v29, v30, v59, -v60
	s_waitcnt vmcnt(4)
	v_mul_f32_e32 v30, v26, v48
	v_mul_f32_e32 v48, v25, v48
	v_fma_f32 v31, v32, v65, -v66
	v_mul_f32_e32 v32, v28, v58
	v_mul_f32_e32 v58, v27, v58
	v_fmac_f32_e32 v30, v25, v47
	v_fma_f32 v25, v26, v47, -v48
	s_waitcnt vmcnt(3)
	v_mul_f32_e32 v26, v22, v44
	v_mul_f32_e32 v44, v21, v44
	global_load_dwordx4 v[65:68], v56, s[16:17]
	v_fmac_f32_e32 v32, v27, v57
	v_fma_f32 v27, v28, v57, -v58
	v_mul_f32_e32 v28, v24, v46
	v_mul_f32_e32 v46, v23, v46
	v_fmac_f32_e32 v26, v21, v43
	v_fma_f32 v21, v22, v43, -v44
	v_mul_f32_e32 v22, v15, v42
	v_bfe_u32 v58, v71, 8, 8
	v_fmac_f32_e32 v28, v23, v45
	v_fma_f32 v23, v24, v45, -v46
	v_mul_f32_e32 v24, v16, v42
	v_fma_f32 v16, v16, v41, -v22
	s_waitcnt vmcnt(3)
	v_mul_f32_e32 v22, v14, v36
	v_lshl_or_b32 v56, v69, 3, 0x800
	v_lshlrev_b32_sdwa v57, v53, v71 dst_sel:DWORD dst_unused:UNUSED_PAD src0_sel:DWORD src1_sel:BYTE_0
	v_bfe_u32 v47, v72, 8, 8
	s_clause 0x1
	global_load_dwordx2 v[42:43], v70, s[12:13]
	global_load_dwordx2 v[44:45], v56, s[12:13]
	v_fmac_f32_e32 v24, v15, v41
	v_mul_f32_e32 v15, v13, v36
	v_lshl_or_b32 v36, v58, 3, 0x800
	v_fmac_f32_e32 v22, v13, v35
	v_mul_f32_e32 v13, v20, v34
	v_mul_f32_e32 v34, v19, v34
	v_lshlrev_b32_sdwa v48, v53, v72 dst_sel:DWORD dst_unused:UNUSED_PAD src0_sel:DWORD src1_sel:BYTE_0
	v_fma_f32 v35, v14, v35, -v15
	global_load_dwordx2 v[14:15], v57, s[12:13]
	v_lshl_or_b32 v56, v47, 3, 0x800
	global_load_dwordx2 v[46:47], v36, s[12:13]
	v_fmac_f32_e32 v13, v19, v33
	v_fma_f32 v19, v20, v33, -v34
	s_waitcnt vmcnt(6)
	v_mul_f32_e32 v20, v18, v40
	v_mul_f32_e32 v33, v17, v40
	v_bfe_u32 v59, v73, 8, 8
	v_bfe_u32 v69, v74, 8, 8
	v_lshlrev_b32_sdwa v60, v53, v73 dst_sel:DWORD dst_unused:UNUSED_PAD src0_sel:DWORD src1_sel:BYTE_0
	s_clause 0x1
	global_load_dwordx2 v[40:41], v48, s[12:13]
	global_load_dwordx2 v[56:57], v56, s[12:13]
	v_fmac_f32_e32 v20, v17, v39
	v_fma_f32 v18, v18, v39, -v33
	v_mul_f32_e32 v17, v12, v38
	v_mul_f32_e32 v36, v11, v38
	s_waitcnt vmcnt(7)
	v_mul_f32_e32 v33, v10, v64
	v_lshl_or_b32 v34, v59, 3, 0x800
	v_lshlrev_b32_sdwa v70, v53, v74 dst_sel:DWORD dst_unused:UNUSED_PAD src0_sel:DWORD src1_sel:BYTE_0
	v_lshl_or_b32 v48, v69, 3, 0x800
	v_mul_f32_e32 v64, v9, v64
	v_fmac_f32_e32 v17, v11, v37
	v_fma_f32 v11, v12, v37, -v36
	s_clause 0x3
	global_load_dwordx2 v[36:37], v60, s[12:13]
	global_load_dwordx2 v[38:39], v34, s[12:13]
	;; [unrolled: 1-line block ×4, first 2 shown]
	v_fmac_f32_e32 v33, v9, v63
	v_lshlrev_b32_sdwa v12, v53, v75 dst_sel:DWORD dst_unused:UNUSED_PAD src0_sel:DWORD src1_sel:BYTE_0
	v_mul_f32_e32 v9, v8, v62
	v_mul_f32_e32 v34, v7, v62
	v_lshl_or_b32 v48, v76, 3, 0x800
	v_fma_f32 v10, v10, v63, -v64
	global_load_dwordx2 v[62:63], v12, s[12:13]
	v_fmac_f32_e32 v9, v7, v61
	v_fma_f32 v7, v8, v61, -v34
	global_load_dwordx2 v[60:61], v48, s[12:13]
	v_bfe_u32 v48, v55, 16, 8
	v_add_nc_u32_e32 v34, 0x4e, v50
	v_sub_f32_e32 v22, v1, v22
	v_sub_f32_e32 v35, v2, v35
	;; [unrolled: 1-line block ×4, first 2 shown]
	v_mul_lo_u32 v34, v49, v34
	v_sub_f32_e32 v29, v18, v29
	v_sub_f32_e32 v32, v17, v32
	;; [unrolled: 1-line block ×7, first 2 shown]
	v_fma_f32 v1, v1, 2.0, -v22
	v_fma_f32 v2, v2, 2.0, -v35
	;; [unrolled: 1-line block ×11, first 2 shown]
	v_add_f32_e32 v25, v22, v25
	v_sub_f32_e32 v30, v35, v30
	v_add_f32_e32 v31, v28, v31
	v_sub_f32_e32 v0, v23, v0
	v_sub_f32_e32 v33, v1, v33
	;; [unrolled: 1-line block ×5, first 2 shown]
	v_fma_f32 v35, v35, 2.0, -v30
	v_fma_f32 v28, v28, 2.0, -v31
	;; [unrolled: 1-line block ×6, first 2 shown]
	s_waitcnt vmcnt(12)
	v_mul_f32_e32 v12, v5, v68
	v_mul_f32_e32 v8, v6, v68
	;; [unrolled: 1-line block ×3, first 2 shown]
	v_fma_f32 v12, v6, v67, -v12
	v_lshl_or_b32 v6, v48, 3, 0x1000
	v_mul_f32_e32 v48, v4, v66
	v_fmac_f32_e32 v8, v5, v67
	v_add_nc_u32_e32 v5, 0x5b, v50
	v_fma_f32 v67, v4, v65, -v55
	v_bfe_u32 v4, v71, 16, 8
	v_fmac_f32_e32 v48, v3, v65
	v_bfe_u32 v66, v75, 16, 8
	v_mul_lo_u32 v64, v49, v5
	v_lshlrev_b32_sdwa v55, v53, v34 dst_sel:DWORD dst_unused:UNUSED_PAD src0_sel:DWORD src1_sel:BYTE_0
	global_load_dwordx2 v[5:6], v6, s[12:13]
	v_sub_f32_e32 v26, v8, v26
	s_waitcnt vmcnt(11)
	v_mul_f32_e32 v3, v43, v45
	v_mul_f32_e32 v68, v42, v45
	v_bfe_u32 v45, v34, 8, 8
	v_bfe_u32 v34, v34, 16, 8
	;; [unrolled: 1-line block ×3, first 2 shown]
	v_fma_f32 v71, v42, v44, -v3
	v_bfe_u32 v42, v72, 16, 8
	v_fmac_f32_e32 v68, v43, v44
	v_bfe_u32 v43, v73, 16, 8
	v_bfe_u32 v44, v74, 16, 8
	v_lshl_or_b32 v3, v4, 3, 0x1000
	s_waitcnt vmcnt(9)
	v_mul_f32_e32 v72, v15, v47
	v_mul_f32_e32 v73, v14, v47
	v_lshl_or_b32 v47, v45, 3, 0x800
	v_lshl_or_b32 v45, v42, 3, 0x1000
	global_load_dwordx2 v[3:4], v3, s[12:13]
	v_fma_f32 v72, v14, v46, -v72
	v_lshl_or_b32 v42, v43, 3, 0x1000
	v_fmac_f32_e32 v73, v15, v46
	s_waitcnt vmcnt(8)
	v_mul_f32_e32 v14, v41, v57
	v_mul_f32_e32 v74, v40, v57
	v_lshl_or_b32 v15, v44, 3, 0x1000
	v_lshl_or_b32 v46, v66, 3, 0x1000
	s_clause 0x1
	global_load_dwordx2 v[42:43], v42, s[12:13]
	global_load_dwordx2 v[44:45], v45, s[12:13]
	v_fma_f32 v75, v40, v56, -v14
	v_fmac_f32_e32 v74, v41, v56
	v_lshl_or_b32 v57, v65, 3, 0x800
	v_lshl_or_b32 v34, v34, 3, 0x1000
	v_sub_f32_e32 v21, v12, v21
	s_waitcnt vmcnt(8)
	v_mul_f32_e32 v14, v37, v39
	v_mul_f32_e32 v41, v36, v39
	s_waitcnt vmcnt(6)
	v_mul_f32_e32 v56, v59, v70
	global_load_dwordx2 v[39:40], v15, s[12:13]
	v_sub_f32_e32 v24, v48, v24
	v_fma_f32 v76, v36, v38, -v14
	v_fmac_f32_e32 v41, v37, v38
	v_mul_f32_e32 v38, v58, v70
	s_clause 0x2
	global_load_dwordx2 v[14:15], v47, s[12:13]
	global_load_dwordx2 v[36:37], v55, s[12:13]
	;; [unrolled: 1-line block ×3, first 2 shown]
	v_fma_f32 v70, v58, v69, -v56
	v_lshlrev_b32_sdwa v56, v53, v64 dst_sel:DWORD dst_unused:UNUSED_PAD src0_sel:DWORD src1_sel:BYTE_0
	v_sub_f32_e32 v16, v67, v16
	s_waitcnt vmcnt(8)
	v_mul_f32_e32 v55, v63, v61
	v_fmac_f32_e32 v38, v59, v69
	v_mul_f32_e32 v69, v62, v61
	v_bfe_u32 v59, v64, 16, 8
	v_fma_f32 v8, v8, 2.0, -v26
	v_fma_f32 v77, v62, v60, -v55
	s_clause 0x1
	global_load_dwordx2 v[55:56], v56, s[12:13]
	global_load_dwordx2 v[57:58], v57, s[12:13]
	v_fmac_f32_e32 v69, v63, v60
	v_add_nc_u32_e32 v60, 0x68, v50
	v_fma_f32 v12, v12, 2.0, -v21
	v_add_f32_e32 v29, v26, v29
	v_add_f32_e32 v27, v24, v27
	v_sub_f32_e32 v32, v16, v32
	v_mul_lo_u32 v62, v49, v60
	v_sub_f32_e32 v18, v12, v18
	v_fma_f32 v26, v26, 2.0, -v29
	v_fma_f32 v12, v12, 2.0, -v18
	v_add_f32_e32 v18, v33, v18
	s_waitcnt vmcnt(3)
	v_mul_f32_e32 v61, v37, v15
	v_mul_f32_e32 v78, v36, v15
	v_lshl_or_b32 v15, v59, 3, 0x1000
	v_fma_f32 v79, v36, v14, -v61
	v_fmac_f32_e32 v78, v37, v14
	s_clause 0x1
	global_load_dwordx2 v[36:37], v15, s[12:13]
	global_load_dwordx2 v[59:60], v34, s[12:13]
	v_lshlrev_b32_sdwa v15, v53, v62 dst_sel:DWORD dst_unused:UNUSED_PAD src0_sel:DWORD src1_sel:BYTE_0
	s_waitcnt vmcnt(2)
	v_mul_f32_e32 v14, v56, v58
	v_mul_f32_e32 v34, v55, v58
	v_fma_f32 v80, v55, v57, -v14
	v_bfe_u32 v14, v62, 8, 8
	v_fmac_f32_e32 v34, v56, v57
	v_bfe_u32 v57, v62, 16, 8
	v_lshl_or_b32 v55, v14, 3, 0x800
	s_clause 0x1
	global_load_dwordx2 v[14:15], v15, s[12:13]
	global_load_dwordx2 v[55:56], v55, s[12:13]
	v_lshl_or_b32 v57, v57, 3, 0x1000
	global_load_dwordx2 v[57:58], v57, s[12:13]
	s_waitcnt vmcnt(1)
	v_mul_f32_e32 v61, v15, v56
	v_mul_f32_e32 v82, v14, v56
	v_fma_f32 v81, v14, v55, -v61
	v_add_nc_u32_e32 v14, 0x75, v50
	v_fmac_f32_e32 v82, v15, v55
	v_add_nc_u32_e32 v15, 0x82, v50
	v_mul_lo_u32 v14, v49, v14
	v_mul_lo_u32 v83, v49, v15
	v_bfe_u32 v55, v14, 16, 8
	v_bfe_u32 v15, v14, 8, 8
	v_lshlrev_b32_sdwa v14, v53, v14 dst_sel:DWORD dst_unused:UNUSED_PAD src0_sel:DWORD src1_sel:BYTE_0
	v_lshlrev_b32_sdwa v64, v53, v83 dst_sel:DWORD dst_unused:UNUSED_PAD src0_sel:DWORD src1_sel:BYTE_0
	v_lshl_or_b32 v63, v55, 3, 0x1000
	v_bfe_u32 v55, v83, 8, 8
	v_lshl_or_b32 v15, v15, 3, 0x800
	v_lshl_or_b32 v65, v55, 3, 0x800
	s_clause 0x4
	global_load_dwordx2 v[55:56], v14, s[12:13]
	global_load_dwordx2 v[61:62], v15, s[12:13]
	;; [unrolled: 1-line block ×5, first 2 shown]
	s_waitcnt vmcnt(3)
	v_mul_f32_e32 v84, v56, v62
	v_fma_f32 v84, v55, v61, -v84
	v_mul_f32_e32 v55, v55, v62
	v_mul_f32_e32 v62, v72, v4
	v_fmac_f32_e32 v55, v56, v61
	v_mul_f32_e32 v56, v68, v6
	v_mul_f32_e32 v6, v71, v6
	v_fmac_f32_e32 v62, v3, v73
	v_fma_f32 v56, v5, v71, -v56
	v_fmac_f32_e32 v6, v5, v68
	v_mul_f32_e32 v5, v73, v4
	v_mul_f32_e32 v4, v75, v45
	v_fma_f32 v61, v3, v72, -v5
	v_mul_f32_e32 v3, v74, v45
	v_fmac_f32_e32 v4, v44, v74
	v_fma_f32 v45, v48, 2.0, -v24
	v_fma_f32 v48, v67, 2.0, -v16
	v_fmamk_f32 v67, v29, 0x3f3504f3, v25
	v_fma_f32 v5, v44, v75, -v3
	v_mul_f32_e32 v3, v41, v43
	v_mul_f32_e32 v43, v76, v43
	v_sub_f32_e32 v17, v45, v17
	v_sub_f32_e32 v11, v48, v11
	v_fma_f32 v24, v24, 2.0, -v27
	v_fma_f32 v44, v42, v76, -v3
	v_add_nc_u32_e32 v3, 0x8f, v50
	v_fmac_f32_e32 v43, v42, v41
	v_mul_f32_e32 v41, v38, v40
	v_fma_f32 v16, v16, 2.0, -v32
	v_fma_f32 v45, v45, 2.0, -v17
	v_mul_lo_u32 v42, v49, v3
	v_mul_f32_e32 v3, v70, v40
	v_sub_f32_e32 v40, v20, v54
	v_mul_f32_e32 v54, v69, v47
	v_mul_f32_e32 v47, v77, v47
	v_fma_f32 v41, v39, v70, -v41
	v_fmamk_f32 v70, v0, 0x3f3504f3, v32
	v_fma_f32 v20, v20, 2.0, -v40
	v_sub_f32_e32 v40, v21, v40
	v_fmac_f32_e32 v47, v46, v69
	v_fmamk_f32 v69, v31, 0x3f3504f3, v27
	v_add_f32_e32 v19, v17, v19
	v_sub_f32_e32 v20, v8, v20
	v_fmamk_f32 v68, v40, 0x3f3504f3, v30
	v_fma_f32 v21, v21, 2.0, -v40
	v_fmac_f32_e32 v67, 0x3f3504f3, v40
	v_fmac_f32_e32 v69, 0x3f3504f3, v0
	v_mul_f32_e32 v40, v79, v60
	v_fmac_f32_e32 v68, 0xbf3504f3, v29
	v_mul_f32_e32 v29, v78, v60
	v_fma_f32 v0, v1, 2.0, -v33
	v_fma_f32 v1, v2, 2.0, -v10
	;; [unrolled: 1-line block ×4, first 2 shown]
	v_sub_f32_e32 v13, v11, v13
	v_sub_f32_e32 v20, v10, v20
	v_fma_f32 v54, v46, v77, -v54
	v_fmac_f32_e32 v70, 0xbf3504f3, v31
	v_fma_f32 v29, v59, v79, -v29
	v_fmamk_f32 v46, v21, 0xbf3504f3, v35
	v_fmac_f32_e32 v40, v59, v78
	v_fmamk_f32 v48, v28, 0xbf3504f3, v24
	v_fmamk_f32 v59, v23, 0xbf3504f3, v16
	v_sub_f32_e32 v2, v0, v2
	v_sub_f32_e32 v7, v8, v7
	;; [unrolled: 1-line block ×4, first 2 shown]
	v_fma_f32 v33, v33, 2.0, -v18
	v_fma_f32 v17, v17, 2.0, -v19
	;; [unrolled: 1-line block ×4, first 2 shown]
	v_fmamk_f32 v31, v26, 0xbf3504f3, v22
	v_fma_f32 v25, v25, 2.0, -v67
	v_fma_f32 v27, v27, 2.0, -v69
	;; [unrolled: 1-line block ×4, first 2 shown]
	v_fmac_f32_e32 v46, 0xbf3504f3, v26
	v_fmac_f32_e32 v48, 0x3f3504f3, v23
	;; [unrolled: 1-line block ×3, first 2 shown]
	v_add_f32_e32 v72, v2, v7
	v_sub_f32_e32 v73, v12, v9
	v_fma_f32 v0, v0, 2.0, -v2
	v_fmamk_f32 v74, v17, 0xbf3504f3, v33
	v_fma_f32 v9, v45, 2.0, -v9
	v_fmamk_f32 v75, v11, 0xbf3504f3, v10
	v_fmac_f32_e32 v3, v39, v38
	v_fmac_f32_e32 v31, 0x3f3504f3, v21
	v_fma_f32 v1, v1, 2.0, -v12
	v_fma_f32 v7, v8, 2.0, -v7
	v_fmamk_f32 v76, v27, 0xbec3ef15, v25
	v_fmac_f32_e32 v74, 0x3f3504f3, v11
	v_fmamk_f32 v77, v32, 0xbec3ef15, v30
	v_fmac_f32_e32 v75, 0xbf3504f3, v17
	v_fma_f32 v17, v35, 2.0, -v46
	v_fma_f32 v8, v16, 2.0, -v59
	;; [unrolled: 1-line block ×4, first 2 shown]
	v_sub_f32_e32 v24, v0, v9
	v_fmamk_f32 v78, v48, 0x3ec3ef15, v31
	v_fmac_f32_e32 v76, 0x3f6c835e, v32
	v_fma_f32 v16, v22, 2.0, -v31
	v_fma_f32 v12, v12, 2.0, -v73
	v_sub_f32_e32 v26, v1, v7
	v_fmac_f32_e32 v77, 0xbf6c835e, v27
	v_fmamk_f32 v27, v8, 0xbf6c835e, v17
	v_mul_f32_e32 v7, v21, v3
	v_fma_f32 v0, v0, 2.0, -v24
	v_fmamk_f32 v79, v59, 0x3ec3ef15, v46
	v_fmac_f32_e32 v78, 0x3f6c835e, v59
	v_fmamk_f32 v59, v11, 0xbf6c835e, v16
	v_fmac_f32_e32 v27, 0xbec3ef15, v11
	v_mul_f32_e32 v2, v12, v3
	v_fma_f32 v1, v1, 2.0, -v26
	v_fma_f32 v22, v33, 2.0, -v74
	;; [unrolled: 1-line block ×4, first 2 shown]
	v_fma_f32 v3, v12, v41, -v7
	v_mul_f32_e32 v7, v6, v0
	v_fma_f32 v25, v30, 2.0, -v77
	v_fmac_f32_e32 v59, 0x3ec3ef15, v8
	v_mul_f32_e32 v10, v6, v1
	v_mul_f32_e32 v6, v22, v4
	;; [unrolled: 1-line block ×4, first 2 shown]
	v_fma_f32 v11, v56, v1, -v7
	v_fma_f32 v7, v17, 2.0, -v27
	v_fmac_f32_e32 v79, 0xbf6c835e, v48
	v_fma_f32 v28, v31, 2.0, -v78
	v_fma_f32 v16, v16, 2.0, -v59
	v_fma_f32 v9, v9, v5, -v6
	v_fmac_f32_e32 v8, v22, v5
	v_fma_f32 v5, v25, v44, -v12
	v_mul_f32_e32 v12, v7, v62
	v_fma_f32 v30, v46, 2.0, -v79
	v_mul_f32_e32 v1, v28, v47
	v_mul_f32_e32 v6, v16, v62
	v_fmac_f32_e32 v10, v56, v0
	v_fmac_f32_e32 v12, v16, v61
	v_mul_f32_e32 v16, v34, v37
	v_mul_f32_e32 v0, v30, v47
	v_fma_f32 v1, v30, v54, -v1
	v_fmamk_f32 v60, v19, 0x3f3504f3, v18
	v_fmamk_f32 v71, v13, 0x3f3504f3, v20
	v_fma_f32 v30, v36, v80, -v16
	v_add_nc_u32_e32 v16, 0x9c, v50
	v_bfe_u32 v38, v42, 8, 8
	v_lshlrev_b32_sdwa v39, v53, v42 dst_sel:DWORD dst_unused:UNUSED_PAD src0_sel:DWORD src1_sel:BYTE_0
	v_fmac_f32_e32 v60, 0x3f3504f3, v13
	v_fmac_f32_e32 v71, 0xbf3504f3, v19
	v_mul_lo_u32 v32, v49, v16
	v_lshl_or_b32 v38, v38, 3, 0x800
	v_fmac_f32_e32 v0, v28, v54
	v_mul_f32_e32 v28, v80, v37
	v_fmac_f32_e32 v2, v21, v41
	v_mul_f32_e32 v4, v25, v43
	v_fma_f32 v25, v18, 2.0, -v60
	v_fma_f32 v13, v7, v61, -v6
	v_fma_f32 v7, v20, 2.0, -v71
	v_bfe_u32 v20, v83, 16, 8
	v_bfe_u32 v21, v42, 16, 8
	s_clause 0x1
	global_load_dwordx2 v[16:17], v39, s[12:13]
	global_load_dwordx2 v[18:19], v38, s[12:13]
	v_fmac_f32_e32 v28, v36, v34
	v_bfe_u32 v34, v32, 8, 8
	v_mul_f32_e32 v6, v82, v58
	v_add_nc_u32_e32 v35, 0xa9, v50
	v_mul_f32_e32 v33, v25, v40
	v_lshl_or_b32 v21, v21, 3, 0x1000
	v_lshl_or_b32 v22, v20, 3, 0x1000
	v_lshlrev_b32_sdwa v36, v53, v32 dst_sel:DWORD dst_unused:UNUSED_PAD src0_sel:DWORD src1_sel:BYTE_0
	v_lshl_or_b32 v34, v34, 3, 0x800
	v_fma_f32 v61, v57, v81, -v6
	v_mul_f32_e32 v6, v7, v40
	v_mul_lo_u32 v40, v49, v35
	v_fmac_f32_e32 v4, v23, v44
	s_clause 0x1
	global_load_dwordx2 v[20:21], v21, s[12:13]
	global_load_dwordx2 v[22:23], v22, s[12:13]
	v_fma_f32 v7, v7, v29, -v33
	v_bfe_u32 v37, v32, 16, 8
	s_clause 0x1
	global_load_dwordx2 v[32:33], v36, s[12:13]
	global_load_dwordx2 v[34:35], v34, s[12:13]
	v_add_nc_u32_e32 v36, 0xb6, v50
	v_bfe_u32 v38, v40, 8, 8
	v_add_nc_u32_e32 v39, 0xc3, v50
	v_lshl_or_b32 v37, v37, 3, 0x1000
	v_lshlrev_b32_sdwa v41, v53, v40 dst_sel:DWORD dst_unused:UNUSED_PAD src0_sel:DWORD src1_sel:BYTE_0
	v_mul_lo_u32 v50, v49, v36
	v_lshl_or_b32 v43, v38, 3, 0x800
	v_mul_lo_u32 v49, v49, v39
	s_clause 0x1
	global_load_dwordx2 v[36:37], v37, s[12:13]
	global_load_dwordx2 v[38:39], v41, s[12:13]
	s_waitcnt vmcnt(8)
	v_mul_f32_e32 v42, v64, v66
	v_bfe_u32 v44, v40, 16, 8
	global_load_dwordx2 v[40:41], v43, s[12:13]
	v_mul_f32_e32 v62, v63, v66
	v_lshlrev_b32_sdwa v45, v53, v50 dst_sel:DWORD dst_unused:UNUSED_PAD src0_sel:DWORD src1_sel:BYTE_0
	v_fma_f32 v63, v63, v65, -v42
	v_bfe_u32 v42, v50, 8, 8
	v_bfe_u32 v43, v49, 8, 8
	v_lshl_or_b32 v44, v44, 3, 0x1000
	v_mul_f32_e32 v48, v55, v15
	v_lshlrev_b32_sdwa v53, v53, v49 dst_sel:DWORD dst_unused:UNUSED_PAD src0_sel:DWORD src1_sel:BYTE_0
	v_lshl_or_b32 v46, v42, 3, 0x800
	v_lshl_or_b32 v54, v43, 3, 0x800
	s_clause 0x2
	global_load_dwordx2 v[42:43], v44, s[12:13]
	global_load_dwordx2 v[44:45], v45, s[12:13]
	;; [unrolled: 1-line block ×3, first 2 shown]
	v_fmac_f32_e32 v62, v64, v65
	v_bfe_u32 v56, v49, 16, 8
	v_fma_f32 v64, v14, v84, -v48
	s_clause 0x1
	global_load_dwordx2 v[48:49], v53, s[12:13]
	global_load_dwordx2 v[53:54], v54, s[12:13]
	v_bfe_u32 v50, v50, 16, 8
	v_mul_f32_e32 v31, v81, v58
	v_mul_f32_e32 v15, v84, v15
	v_lshl_or_b32 v56, v56, 3, 0x1000
	v_fmamk_f32 v65, v70, 0x3f6c835e, v68
	v_lshl_or_b32 v50, v50, 3, 0x1000
	v_fmac_f32_e32 v31, v57, v82
	v_fmac_f32_e32 v15, v14, v55
	s_clause 0x1
	global_load_dwordx2 v[55:56], v56, s[12:13]
	global_load_dwordx2 v[57:58], v50, s[12:13]
	v_fmamk_f32 v50, v69, 0x3f6c835e, v67
	v_fmac_f32_e32 v65, 0xbec3ef15, v69
	v_fmac_f32_e32 v6, v25, v29
	;; [unrolled: 1-line block ×3, first 2 shown]
	v_fma_f32 v66, v68, 2.0, -v65
	v_fma_f32 v14, v67, 2.0, -v50
	v_mul_f32_e32 v67, v14, v28
	v_mul_f32_e32 v28, v66, v28
	v_fma_f32 v29, v66, v30, -v67
	v_fmac_f32_e32 v28, v14, v30
	v_mul_f32_e32 v14, v24, v31
	v_mul_f32_e32 v30, v26, v31
	v_fma_f32 v31, v26, v61, -v14
	v_mul_f32_e32 v26, v27, v15
	v_fmac_f32_e32 v30, v24, v61
	v_fmac_f32_e32 v26, v59, v64
	s_waitcnt vmcnt(14)
	v_mul_f32_e32 v25, v16, v19
	v_mul_f32_e32 v19, v17, v19
	v_fmac_f32_e32 v25, v17, v18
	v_fma_f32 v16, v16, v18, -v19
	v_mul_f32_e32 v17, v59, v15
	v_fma_f32 v27, v27, v64, -v17
	s_waitcnt vmcnt(13)
	v_mul_f32_e32 v17, v25, v21
	s_waitcnt vmcnt(12)
	v_mul_f32_e32 v15, v63, v23
	v_mul_f32_e32 v19, v16, v21
	;; [unrolled: 1-line block ×3, first 2 shown]
	s_waitcnt vmcnt(10)
	v_mul_f32_e32 v21, v32, v35
	v_fma_f32 v16, v20, v16, -v17
	v_fmac_f32_e32 v15, v22, v62
	v_mul_f32_e32 v17, v33, v35
	v_fma_f32 v14, v22, v63, -v14
	v_fmac_f32_e32 v21, v33, v34
	v_fmac_f32_e32 v19, v20, v25
	v_mul_f32_e32 v18, v74, v15
	v_mul_f32_e32 v24, v75, v15
	v_fma_f32 v15, v32, v34, -v17
	s_waitcnt vmcnt(9)
	v_mul_f32_e32 v17, v21, v37
	v_fma_f32 v25, v75, v14, -v18
	v_fmac_f32_e32 v24, v74, v14
	v_mul_f32_e32 v20, v15, v37
	v_fma_f32 v15, v36, v15, -v17
	s_waitcnt vmcnt(7)
	v_mul_f32_e32 v14, v39, v41
	v_mul_f32_e32 v17, v38, v41
	;; [unrolled: 1-line block ×3, first 2 shown]
	v_fmac_f32_e32 v20, v36, v21
	v_mul_f32_e32 v19, v76, v19
	v_fma_f32 v21, v38, v40, -v14
	v_fmac_f32_e32 v17, v39, v40
	v_fmac_f32_e32 v18, v76, v16
	v_mul_f32_e32 v14, v73, v20
	v_mul_f32_e32 v20, v72, v20
	v_fma_f32 v19, v77, v16, -v19
	s_waitcnt vmcnt(6)
	v_mul_f32_e32 v22, v21, v43
	v_mul_f32_e32 v16, v17, v43
	v_fmac_f32_e32 v14, v72, v15
	v_fma_f32 v15, v73, v15, -v20
	s_waitcnt vmcnt(4)
	v_mul_f32_e32 v20, v45, v47
	v_fmac_f32_e32 v22, v42, v17
	v_fma_f32 v17, v42, v21, -v16
	s_waitcnt vmcnt(2)
	v_mul_f32_e32 v21, v49, v54
	v_mul_f32_e32 v23, v44, v47
	v_fma_f32 v20, v44, v46, -v20
	v_mul_f32_e32 v32, v48, v54
	v_mul_f32_e32 v16, v79, v22
	v_fma_f32 v21, v48, v53, -v21
	v_fmac_f32_e32 v23, v45, v46
	s_waitcnt vmcnt(0)
	v_mul_f32_e32 v33, v20, v58
	v_fmac_f32_e32 v32, v49, v53
	v_fmac_f32_e32 v16, v78, v17
	v_mul_f32_e32 v34, v21, v56
	v_mul_f32_e32 v35, v23, v58
	v_fmac_f32_e32 v33, v57, v23
	v_mul_f32_e32 v36, v32, v56
	v_mul_f32_e32 v23, v78, v22
	v_fmac_f32_e32 v34, v55, v32
	v_fma_f32 v32, v57, v20, -v35
	v_mul_f32_e32 v22, v71, v33
	v_mul_f32_e32 v33, v60, v33
	v_fma_f32 v21, v55, v21, -v36
	v_mul_f32_e32 v20, v65, v34
	v_mul_f32_e32 v34, v50, v34
	v_fma_f32 v17, v79, v17, -v23
	v_fmac_f32_e32 v22, v60, v32
	v_fma_f32 v23, v71, v32, -v33
	v_fmac_f32_e32 v20, v50, v21
	v_fma_f32 v21, v65, v21, -v34
	v_add_nc_u32_e32 v46, 13, v51
	v_add_nc_u32_e32 v45, 26, v51
	;; [unrolled: 1-line block ×15, first 2 shown]
	s_and_saveexec_b32 s7, s1
	s_cbranch_execz .LBB0_18
; %bb.17:
	v_mad_u64_u32 v[47:48], null, s10, v52, 0
	v_mad_u64_u32 v[49:50], null, s8, v51, 0
	;; [unrolled: 1-line block ×3, first 2 shown]
	s_lshl_b64 s[12:13], s[2:3], 3
	s_add_u32 s1, s4, s12
	s_addc_u32 s12, s5, s13
	v_mad_u64_u32 v[55:56], null, s11, v52, v[48:49]
	v_mov_b32_e32 v48, v54
	v_mad_u64_u32 v[58:59], null, s9, v51, v[50:51]
	v_mad_u64_u32 v[56:57], null, s8, v45, 0
	;; [unrolled: 1-line block ×3, first 2 shown]
	v_mov_b32_e32 v48, v55
	v_mad_u64_u32 v[60:61], null, s8, v42, 0
	v_mov_b32_e32 v50, v58
	v_mov_b32_e32 v54, v57
	v_lshlrev_b64 v[47:48], 3, v[47:48]
	v_lshlrev_b64 v[49:50], 3, v[49:50]
	v_mad_u64_u32 v[57:58], null, s9, v45, v[54:55]
	v_mov_b32_e32 v54, v59
	v_add_co_u32 v63, s1, s1, v47
	v_add_co_ci_u32_e64 v64, s1, s12, v48, s1
	v_lshlrev_b64 v[47:48], 3, v[53:54]
	v_add_co_u32 v49, s1, v63, v49
	v_add_co_ci_u32_e64 v50, s1, v64, v50, s1
	v_mad_u64_u32 v[53:54], null, s8, v43, 0
	v_mad_u64_u32 v[58:59], null, s8, v44, 0
	v_add_co_u32 v47, s1, v63, v47
	global_store_dwordx2 v[49:50], v[10:11], off
	v_lshlrev_b64 v[49:50], 3, v[56:57]
	v_add_co_ci_u32_e64 v48, s1, v64, v48, s1
	global_store_dwordx2 v[47:48], v[12:13], off
	v_mov_b32_e32 v47, v54
	v_mov_b32_e32 v48, v59
	v_add_co_u32 v49, s1, v63, v49
	v_add_co_ci_u32_e64 v50, s1, v64, v50, s1
	v_mad_u64_u32 v[54:55], null, s9, v43, v[47:48]
	v_mad_u64_u32 v[47:48], null, s9, v44, v[48:49]
	;; [unrolled: 1-line block ×3, first 2 shown]
	global_store_dwordx2 v[49:50], v[8:9], off
	v_mov_b32_e32 v50, v61
	v_lshlrev_b64 v[48:49], 3, v[53:54]
	v_mov_b32_e32 v59, v47
	v_mov_b32_e32 v47, v56
	v_lshlrev_b64 v[53:54], 3, v[58:59]
	v_mad_u64_u32 v[56:57], null, s9, v41, v[47:48]
	v_add_co_u32 v47, s1, v63, v48
	v_add_co_ci_u32_e64 v48, s1, v64, v49, s1
	v_add_co_u32 v49, s1, v63, v53
	v_mad_u64_u32 v[57:58], null, s9, v42, v[50:51]
	v_add_co_ci_u32_e64 v50, s1, v64, v54, s1
	v_mad_u64_u32 v[53:54], null, s8, v40, 0
	global_store_dwordx2 v[47:48], v[4:5], off
	global_store_dwordx2 v[49:50], v[2:3], off
	v_lshlrev_b64 v[47:48], 3, v[55:56]
	v_mad_u64_u32 v[55:56], null, s8, v39, 0
	v_mov_b32_e32 v61, v57
	v_add_co_u32 v47, s1, v63, v47
	v_lshlrev_b64 v[49:50], 3, v[60:61]
	v_mad_u64_u32 v[57:58], null, s9, v40, v[54:55]
	v_mov_b32_e32 v54, v56
	v_add_co_ci_u32_e64 v48, s1, v64, v48, s1
	v_add_co_u32 v49, s1, v63, v49
	v_mad_u64_u32 v[58:59], null, s9, v39, v[54:55]
	v_mad_u64_u32 v[59:60], null, s8, v38, 0
	v_mov_b32_e32 v54, v57
	v_add_co_ci_u32_e64 v50, s1, v64, v50, s1
	global_store_dwordx2 v[47:48], v[0:1], off
	global_store_dwordx2 v[49:50], v[6:7], off
	v_mov_b32_e32 v56, v58
	v_lshlrev_b64 v[47:48], 3, v[53:54]
	v_mov_b32_e32 v49, v60
	v_mad_u64_u32 v[53:54], null, s8, v37, 0
	v_lshlrev_b64 v[55:56], 3, v[55:56]
	v_mad_u64_u32 v[49:50], null, s9, v38, v[49:50]
	v_add_co_u32 v47, s1, v63, v47
	v_mov_b32_e32 v50, v54
	v_add_co_ci_u32_e64 v48, s1, v64, v48, s1
	v_add_co_u32 v54, s1, v63, v55
	v_add_co_ci_u32_e64 v55, s1, v64, v56, s1
	v_mov_b32_e32 v60, v49
	v_mad_u64_u32 v[49:50], null, s9, v37, v[50:51]
	v_mad_u64_u32 v[56:57], null, s8, v36, 0
	global_store_dwordx2 v[47:48], v[28:29], off
	global_store_dwordx2 v[54:55], v[30:31], off
                                        ; kill: def $vgpr50 killed $sgpr0 killed $exec
	v_lshlrev_b64 v[47:48], 3, v[59:60]
	v_mad_u64_u32 v[58:59], null, s8, v34, 0
	v_mov_b32_e32 v54, v49
	v_mov_b32_e32 v49, v57
	v_add_co_u32 v47, s1, v63, v47
	v_lshlrev_b64 v[53:54], 3, v[53:54]
	v_mad_u64_u32 v[49:50], null, s9, v36, v[49:50]
	v_add_co_ci_u32_e64 v48, s1, v64, v48, s1
                                        ; kill: def $vgpr50 killed $sgpr0 killed $exec
	v_add_co_u32 v53, s1, v63, v53
	v_add_co_ci_u32_e64 v54, s1, v64, v54, s1
	v_mov_b32_e32 v57, v49
	v_mov_b32_e32 v49, v59
	global_store_dwordx2 v[47:48], v[26:27], off
	v_mad_u64_u32 v[47:48], null, s8, v35, 0
	global_store_dwordx2 v[53:54], v[24:25], off
	v_mad_u64_u32 v[49:50], null, s9, v34, v[49:50]
	v_mad_u64_u32 v[53:54], null, s8, v33, 0
	v_lshlrev_b64 v[55:56], 3, v[56:57]
	v_mad_u64_u32 v[60:61], null, s9, v35, v[48:49]
	v_mad_u64_u32 v[61:62], null, s8, v32, 0
	v_mov_b32_e32 v50, v54
	v_add_co_u32 v54, s1, v63, v55
	v_mov_b32_e32 v59, v49
	v_add_co_ci_u32_e64 v55, s1, v64, v56, s1
	v_mad_u64_u32 v[49:50], null, s9, v33, v[50:51]
	v_mov_b32_e32 v50, v62
	global_store_dwordx2 v[54:55], v[18:19], off
	v_lshlrev_b64 v[55:56], 3, v[58:59]
	v_mov_b32_e32 v48, v60
	v_mad_u64_u32 v[57:58], null, s9, v32, v[50:51]
	v_mov_b32_e32 v54, v49
	v_lshlrev_b64 v[47:48], 3, v[47:48]
	v_add_co_u32 v49, s1, v63, v55
	v_add_co_ci_u32_e64 v50, s1, v64, v56, s1
	v_mov_b32_e32 v62, v57
	v_lshlrev_b64 v[53:54], 3, v[53:54]
	v_add_co_u32 v47, s1, v63, v47
	v_add_co_ci_u32_e64 v48, s1, v64, v48, s1
	v_lshlrev_b64 v[55:56], 3, v[61:62]
	v_add_co_u32 v53, s1, v63, v53
	v_add_co_ci_u32_e64 v54, s1, v64, v54, s1
	v_add_co_u32 v55, s1, v63, v55
	v_add_co_ci_u32_e64 v56, s1, v64, v56, s1
	global_store_dwordx2 v[49:50], v[14:15], off
	global_store_dwordx2 v[47:48], v[16:17], off
	global_store_dwordx2 v[53:54], v[22:23], off
	global_store_dwordx2 v[55:56], v[20:21], off
.LBB0_18:
	s_or_b32 exec_lo, exec_lo, s7
	s_xor_b32 s1, s6, -1
	s_and_b32 s0, s0, vcc_lo
	s_and_b32 s0, s1, s0
	s_and_saveexec_b32 s1, s0
	s_cbranch_execz .LBB0_20
; %bb.19:
	v_mad_u64_u32 v[47:48], null, s10, v52, 0
	v_mad_u64_u32 v[49:50], null, s8, v51, 0
	;; [unrolled: 1-line block ×3, first 2 shown]
	s_lshl_b64 s[0:1], s[2:3], 3
	s_add_u32 s0, s4, s0
	s_addc_u32 s1, s5, s1
	v_mad_u64_u32 v[55:56], null, s11, v52, v[48:49]
	v_mov_b32_e32 v48, v54
	v_mad_u64_u32 v[56:57], null, s8, v45, 0
	v_mad_u64_u32 v[50:51], null, s9, v51, v[50:51]
	;; [unrolled: 1-line block ×3, first 2 shown]
	v_mov_b32_e32 v48, v55
	v_mov_b32_e32 v46, v57
	v_lshlrev_b64 v[49:50], 3, v[49:50]
	v_lshlrev_b64 v[47:48], 3, v[47:48]
	v_mov_b32_e32 v54, v51
	v_mad_u64_u32 v[45:46], null, s9, v45, v[46:47]
	v_add_co_u32 v55, vcc_lo, s0, v47
	v_add_co_ci_u32_e32 v58, vcc_lo, s1, v48, vcc_lo
	v_lshlrev_b64 v[46:47], 3, v[53:54]
	v_add_co_u32 v48, vcc_lo, v55, v49
	v_add_co_ci_u32_e32 v49, vcc_lo, v58, v50, vcc_lo
	v_mad_u64_u32 v[50:51], null, s8, v43, 0
	v_mad_u64_u32 v[52:53], null, s8, v44, 0
	v_mov_b32_e32 v57, v45
	v_add_co_u32 v45, vcc_lo, v55, v46
	v_add_co_ci_u32_e32 v46, vcc_lo, v58, v47, vcc_lo
	global_store_dwordx2 v[48:49], v[10:11], off
	v_lshlrev_b64 v[10:11], 3, v[56:57]
	global_store_dwordx2 v[45:46], v[12:13], off
	v_mov_b32_e32 v12, v51
	v_mov_b32_e32 v13, v53
	v_add_co_u32 v10, vcc_lo, v55, v10
	v_add_co_ci_u32_e32 v11, vcc_lo, v58, v11, vcc_lo
	v_mad_u64_u32 v[45:46], null, s9, v43, v[12:13]
	v_mad_u64_u32 v[12:13], null, s9, v44, v[13:14]
	;; [unrolled: 1-line block ×4, first 2 shown]
	v_mov_b32_e32 v51, v45
	global_store_dwordx2 v[10:11], v[8:9], off
	v_mov_b32_e32 v53, v12
	v_mov_b32_e32 v8, v44
	v_lshlrev_b64 v[9:10], 3, v[50:51]
	v_mov_b32_e32 v11, v47
	v_lshlrev_b64 v[12:13], 3, v[52:53]
	v_mad_u64_u32 v[44:45], null, s9, v41, v[8:9]
	v_add_co_u32 v8, vcc_lo, v55, v9
	v_add_co_ci_u32_e32 v9, vcc_lo, v58, v10, vcc_lo
	v_add_co_u32 v10, vcc_lo, v55, v12
	v_mad_u64_u32 v[41:42], null, s9, v42, v[11:12]
	v_add_co_ci_u32_e32 v11, vcc_lo, v58, v13, vcc_lo
	v_mad_u64_u32 v[12:13], null, s8, v40, 0
	global_store_dwordx2 v[8:9], v[4:5], off
	global_store_dwordx2 v[10:11], v[2:3], off
	v_lshlrev_b64 v[2:3], 3, v[43:44]
	v_mov_b32_e32 v47, v41
	v_mad_u64_u32 v[8:9], null, s8, v39, 0
	v_mov_b32_e32 v10, v13
	v_lshlrev_b64 v[4:5], 3, v[46:47]
	v_add_co_u32 v2, vcc_lo, v55, v2
	v_add_co_ci_u32_e32 v3, vcc_lo, v58, v3, vcc_lo
	v_mad_u64_u32 v[10:11], null, s9, v40, v[10:11]
	v_add_co_u32 v4, vcc_lo, v55, v4
	v_add_co_ci_u32_e32 v5, vcc_lo, v58, v5, vcc_lo
	global_store_dwordx2 v[2:3], v[0:1], off
	global_store_dwordx2 v[4:5], v[6:7], off
	v_mad_u64_u32 v[39:40], null, s9, v39, v[9:10]
	v_mad_u64_u32 v[40:41], null, s8, v38, 0
	v_mov_b32_e32 v13, v10
	v_mad_u64_u32 v[3:4], null, s8, v37, 0
	v_mov_b32_e32 v9, v39
	v_lshlrev_b64 v[0:1], 3, v[12:13]
	v_mov_b32_e32 v2, v41
	v_mad_u64_u32 v[11:12], null, s8, v32, 0
	v_lshlrev_b64 v[5:6], 3, v[8:9]
	v_mad_u64_u32 v[9:10], null, s8, v34, 0
	v_mad_u64_u32 v[7:8], null, s9, v38, v[2:3]
	v_add_co_u32 v0, vcc_lo, v55, v0
	v_mov_b32_e32 v2, v4
	v_add_co_ci_u32_e32 v1, vcc_lo, v58, v1, vcc_lo
	v_add_co_u32 v4, vcc_lo, v55, v5
	v_add_co_ci_u32_e32 v5, vcc_lo, v58, v6, vcc_lo
	v_mov_b32_e32 v41, v7
	v_mad_u64_u32 v[6:7], null, s9, v37, v[2:3]
	v_mad_u64_u32 v[7:8], null, s8, v36, 0
	global_store_dwordx2 v[0:1], v[28:29], off
	global_store_dwordx2 v[4:5], v[30:31], off
	v_lshlrev_b64 v[0:1], 3, v[40:41]
	v_mov_b32_e32 v4, v6
	v_mov_b32_e32 v2, v8
	v_add_co_u32 v0, vcc_lo, v55, v0
	v_lshlrev_b64 v[3:4], 3, v[3:4]
	v_add_co_ci_u32_e32 v1, vcc_lo, v58, v1, vcc_lo
	v_mad_u64_u32 v[5:6], null, s9, v36, v[2:3]
	v_add_co_u32 v2, vcc_lo, v55, v3
	v_add_co_ci_u32_e32 v3, vcc_lo, v58, v4, vcc_lo
	global_store_dwordx2 v[0:1], v[26:27], off
	v_mad_u64_u32 v[0:1], null, s8, v35, 0
	global_store_dwordx2 v[2:3], v[24:25], off
	v_mad_u64_u32 v[3:4], null, s8, v33, 0
	v_mov_b32_e32 v8, v5
	v_mov_b32_e32 v2, v10
	v_lshlrev_b64 v[5:6], 3, v[7:8]
	v_mad_u64_u32 v[7:8], null, s9, v34, v[2:3]
	v_mad_u64_u32 v[1:2], null, s9, v35, v[1:2]
	v_mov_b32_e32 v2, v4
	v_add_co_u32 v4, vcc_lo, v55, v5
	v_add_co_ci_u32_e32 v5, vcc_lo, v58, v6, vcc_lo
	v_mov_b32_e32 v10, v7
	v_mad_u64_u32 v[6:7], null, s9, v33, v[2:3]
	v_mov_b32_e32 v2, v12
	global_store_dwordx2 v[4:5], v[18:19], off
	v_lshlrev_b64 v[7:8], 3, v[9:10]
	v_lshlrev_b64 v[0:1], 3, v[0:1]
	v_mad_u64_u32 v[9:10], null, s9, v32, v[2:3]
	v_mov_b32_e32 v4, v6
	v_add_co_u32 v5, vcc_lo, v55, v7
	v_add_co_ci_u32_e32 v6, vcc_lo, v58, v8, vcc_lo
	v_lshlrev_b64 v[2:3], 3, v[3:4]
	v_mov_b32_e32 v12, v9
	v_add_co_u32 v0, vcc_lo, v55, v0
	v_add_co_ci_u32_e32 v1, vcc_lo, v58, v1, vcc_lo
	v_lshlrev_b64 v[7:8], 3, v[11:12]
	v_add_co_u32 v2, vcc_lo, v55, v2
	v_add_co_ci_u32_e32 v3, vcc_lo, v58, v3, vcc_lo
	v_add_co_u32 v7, vcc_lo, v55, v7
	v_add_co_ci_u32_e32 v8, vcc_lo, v58, v8, vcc_lo
	global_store_dwordx2 v[5:6], v[14:15], off
	global_store_dwordx2 v[0:1], v[16:17], off
	;; [unrolled: 1-line block ×4, first 2 shown]
.LBB0_20:
	s_endpgm
	.section	.rodata,"a",@progbits
	.p2align	6, 0x0
	.amdhsa_kernel fft_rtc_back_len208_factors_13_16_wgs_144_tpt_16_sp_ip_CI_sbcc_twdbase8_3step_dirReg
		.amdhsa_group_segment_fixed_size 0
		.amdhsa_private_segment_fixed_size 0
		.amdhsa_kernarg_size 96
		.amdhsa_user_sgpr_count 6
		.amdhsa_user_sgpr_private_segment_buffer 1
		.amdhsa_user_sgpr_dispatch_ptr 0
		.amdhsa_user_sgpr_queue_ptr 0
		.amdhsa_user_sgpr_kernarg_segment_ptr 1
		.amdhsa_user_sgpr_dispatch_id 0
		.amdhsa_user_sgpr_flat_scratch_init 0
		.amdhsa_user_sgpr_private_segment_size 0
		.amdhsa_wavefront_size32 1
		.amdhsa_uses_dynamic_stack 0
		.amdhsa_system_sgpr_private_segment_wavefront_offset 0
		.amdhsa_system_sgpr_workgroup_id_x 1
		.amdhsa_system_sgpr_workgroup_id_y 0
		.amdhsa_system_sgpr_workgroup_id_z 0
		.amdhsa_system_sgpr_workgroup_info 0
		.amdhsa_system_vgpr_workitem_id 0
		.amdhsa_next_free_vgpr 85
		.amdhsa_next_free_sgpr 46
		.amdhsa_reserve_vcc 1
		.amdhsa_reserve_flat_scratch 0
		.amdhsa_float_round_mode_32 0
		.amdhsa_float_round_mode_16_64 0
		.amdhsa_float_denorm_mode_32 3
		.amdhsa_float_denorm_mode_16_64 3
		.amdhsa_dx10_clamp 1
		.amdhsa_ieee_mode 1
		.amdhsa_fp16_overflow 0
		.amdhsa_workgroup_processor_mode 1
		.amdhsa_memory_ordered 1
		.amdhsa_forward_progress 0
		.amdhsa_shared_vgpr_count 0
		.amdhsa_exception_fp_ieee_invalid_op 0
		.amdhsa_exception_fp_denorm_src 0
		.amdhsa_exception_fp_ieee_div_zero 0
		.amdhsa_exception_fp_ieee_overflow 0
		.amdhsa_exception_fp_ieee_underflow 0
		.amdhsa_exception_fp_ieee_inexact 0
		.amdhsa_exception_int_div_zero 0
	.end_amdhsa_kernel
	.text
.Lfunc_end0:
	.size	fft_rtc_back_len208_factors_13_16_wgs_144_tpt_16_sp_ip_CI_sbcc_twdbase8_3step_dirReg, .Lfunc_end0-fft_rtc_back_len208_factors_13_16_wgs_144_tpt_16_sp_ip_CI_sbcc_twdbase8_3step_dirReg
                                        ; -- End function
	.section	.AMDGPU.csdata,"",@progbits
; Kernel info:
; codeLenInByte = 11408
; NumSgprs: 48
; NumVgprs: 85
; ScratchSize: 0
; MemoryBound: 0
; FloatMode: 240
; IeeeMode: 1
; LDSByteSize: 0 bytes/workgroup (compile time only)
; SGPRBlocks: 5
; VGPRBlocks: 10
; NumSGPRsForWavesPerEU: 48
; NumVGPRsForWavesPerEU: 85
; Occupancy: 10
; WaveLimiterHint : 1
; COMPUTE_PGM_RSRC2:SCRATCH_EN: 0
; COMPUTE_PGM_RSRC2:USER_SGPR: 6
; COMPUTE_PGM_RSRC2:TRAP_HANDLER: 0
; COMPUTE_PGM_RSRC2:TGID_X_EN: 1
; COMPUTE_PGM_RSRC2:TGID_Y_EN: 0
; COMPUTE_PGM_RSRC2:TGID_Z_EN: 0
; COMPUTE_PGM_RSRC2:TIDIG_COMP_CNT: 0
	.text
	.p2alignl 6, 3214868480
	.fill 48, 4, 3214868480
	.type	__hip_cuid_fc4ea95a1bbe5465,@object ; @__hip_cuid_fc4ea95a1bbe5465
	.section	.bss,"aw",@nobits
	.globl	__hip_cuid_fc4ea95a1bbe5465
__hip_cuid_fc4ea95a1bbe5465:
	.byte	0                               ; 0x0
	.size	__hip_cuid_fc4ea95a1bbe5465, 1

	.ident	"AMD clang version 19.0.0git (https://github.com/RadeonOpenCompute/llvm-project roc-6.4.0 25133 c7fe45cf4b819c5991fe208aaa96edf142730f1d)"
	.section	".note.GNU-stack","",@progbits
	.addrsig
	.addrsig_sym __hip_cuid_fc4ea95a1bbe5465
	.amdgpu_metadata
---
amdhsa.kernels:
  - .args:
      - .actual_access:  read_only
        .address_space:  global
        .offset:         0
        .size:           8
        .value_kind:     global_buffer
      - .address_space:  global
        .offset:         8
        .size:           8
        .value_kind:     global_buffer
      - .offset:         16
        .size:           8
        .value_kind:     by_value
      - .actual_access:  read_only
        .address_space:  global
        .offset:         24
        .size:           8
        .value_kind:     global_buffer
      - .actual_access:  read_only
        .address_space:  global
        .offset:         32
        .size:           8
        .value_kind:     global_buffer
      - .offset:         40
        .size:           8
        .value_kind:     by_value
      - .actual_access:  read_only
        .address_space:  global
        .offset:         48
        .size:           8
        .value_kind:     global_buffer
      - .actual_access:  read_only
        .address_space:  global
        .offset:         56
        .size:           8
        .value_kind:     global_buffer
      - .offset:         64
        .size:           4
        .value_kind:     by_value
      - .actual_access:  read_only
        .address_space:  global
        .offset:         72
        .size:           8
        .value_kind:     global_buffer
      - .actual_access:  read_only
        .address_space:  global
        .offset:         80
        .size:           8
        .value_kind:     global_buffer
      - .address_space:  global
        .offset:         88
        .size:           8
        .value_kind:     global_buffer
    .group_segment_fixed_size: 0
    .kernarg_segment_align: 8
    .kernarg_segment_size: 96
    .language:       OpenCL C
    .language_version:
      - 2
      - 0
    .max_flat_workgroup_size: 144
    .name:           fft_rtc_back_len208_factors_13_16_wgs_144_tpt_16_sp_ip_CI_sbcc_twdbase8_3step_dirReg
    .private_segment_fixed_size: 0
    .sgpr_count:     48
    .sgpr_spill_count: 0
    .symbol:         fft_rtc_back_len208_factors_13_16_wgs_144_tpt_16_sp_ip_CI_sbcc_twdbase8_3step_dirReg.kd
    .uniform_work_group_size: 1
    .uses_dynamic_stack: false
    .vgpr_count:     85
    .vgpr_spill_count: 0
    .wavefront_size: 32
    .workgroup_processor_mode: 1
amdhsa.target:   amdgcn-amd-amdhsa--gfx1030
amdhsa.version:
  - 1
  - 2
...

	.end_amdgpu_metadata
